;; amdgpu-corpus repo=ROCm/rocFFT kind=compiled arch=gfx1030 opt=O3
	.text
	.amdgcn_target "amdgcn-amd-amdhsa--gfx1030"
	.amdhsa_code_object_version 6
	.protected	bluestein_single_back_len1089_dim1_sp_op_CI_CI ; -- Begin function bluestein_single_back_len1089_dim1_sp_op_CI_CI
	.globl	bluestein_single_back_len1089_dim1_sp_op_CI_CI
	.p2align	8
	.type	bluestein_single_back_len1089_dim1_sp_op_CI_CI,@function
bluestein_single_back_len1089_dim1_sp_op_CI_CI: ; @bluestein_single_back_len1089_dim1_sp_op_CI_CI
; %bb.0:
	s_load_dwordx4 s[16:19], s[4:5], 0x28
	v_mul_u32_u24_e32 v1, 0x21e, v0
	v_mov_b32_e32 v73, 0
	s_mov_b32 s0, exec_lo
	v_lshrrev_b32_e32 v1, 16, v1
	v_add_nc_u32_e32 v72, s6, v1
	s_waitcnt lgkmcnt(0)
	v_cmpx_gt_u64_e64 s[16:17], v[72:73]
	s_cbranch_execz .LBB0_18
; %bb.1:
	s_clause 0x1
	s_load_dwordx4 s[0:3], s[4:5], 0x18
	s_load_dwordx4 s[8:11], s[4:5], 0x0
	v_mul_lo_u16 v1, 0x79, v1
	v_mov_b32_e32 v33, 3
                                        ; implicit-def: $vgpr40
	v_sub_nc_u16 v32, v0, v1
	v_and_b32_e32 v96, 0xffff, v32
	v_mul_lo_u16 v34, v32, 3
	v_lshlrev_b32_e32 v95, 3, v96
	v_lshlrev_b32_sdwa v101, v33, v34 dst_sel:DWORD dst_unused:UNUSED_PAD src0_sel:DWORD src1_sel:WORD_0
	s_waitcnt lgkmcnt(0)
	s_load_dwordx4 s[12:15], s[0:1], 0x0
	global_load_dwordx2 v[87:88], v95, s[8:9]
	v_add_nc_u32_e32 v35, 0xc00, v95
	v_add_nc_u32_e32 v36, 0x1400, v95
	s_waitcnt lgkmcnt(0)
	v_mad_u64_u32 v[0:1], null, s14, v72, 0
	v_mad_u64_u32 v[2:3], null, s12, v96, 0
	s_mul_i32 s0, s13, 0xb58
	s_mul_hi_u32 s1, s12, 0xb58
	s_mul_i32 s6, s12, 0xb58
	s_add_i32 s1, s1, s0
	v_add_co_u32 v16, s0, s8, v95
	v_mad_u64_u32 v[4:5], null, s15, v72, v[1:2]
	v_add_co_ci_u32_e64 v17, null, s9, 0, s0
	s_mul_i32 s0, s13, 0xffffed18
	s_sub_i32 s0, s0, s12
	v_mad_u64_u32 v[5:6], null, s13, v96, v[3:4]
	v_mov_b32_e32 v1, v4
	v_lshlrev_b64 v[0:1], 3, v[0:1]
	v_mov_b32_e32 v3, v5
	v_add_co_u32 v0, vcc_lo, s18, v0
	v_lshlrev_b64 v[2:3], 3, v[2:3]
	v_add_co_ci_u32_e32 v1, vcc_lo, s19, v1, vcc_lo
	v_add_co_u32 v0, vcc_lo, v0, v2
	v_add_co_ci_u32_e32 v1, vcc_lo, v1, v3, vcc_lo
	v_add_co_u32 v2, vcc_lo, v0, s6
	;; [unrolled: 2-line block ×4, first 2 shown]
	v_add_co_ci_u32_e32 v9, vcc_lo, 0, v17, vcc_lo
	v_mad_u64_u32 v[6:7], null, 0xffffed18, s12, v[4:5]
	v_add_co_u32 v10, vcc_lo, 0x1000, v16
	v_add_co_ci_u32_e32 v11, vcc_lo, 0, v17, vcc_lo
	global_load_dwordx2 v[89:90], v[8:9], off offset:856
	s_clause 0x1
	global_load_dwordx2 v[14:15], v[0:1], off
	global_load_dwordx2 v[2:3], v[2:3], off
	v_add_nc_u32_e32 v7, s0, v7
	v_add_co_u32 v12, vcc_lo, v6, s6
	global_load_dwordx2 v[79:80], v[10:11], off offset:1712
	v_add_co_ci_u32_e32 v13, vcc_lo, s1, v7, vcc_lo
	v_add_co_u32 v0, vcc_lo, v12, s6
	v_add_co_ci_u32_e32 v1, vcc_lo, s1, v13, vcc_lo
	v_add_co_u32 v16, vcc_lo, 0x1800, v16
	v_add_co_ci_u32_e32 v17, vcc_lo, 0, v17, vcc_lo
	v_mad_u64_u32 v[18:19], null, 0xffffed18, s12, v[0:1]
	s_clause 0x1
	global_load_dwordx2 v[4:5], v[4:5], off
	global_load_dwordx2 v[6:7], v[6:7], off
	s_clause 0x3
	global_load_dwordx2 v[85:86], v95, s[8:9] offset:968
	global_load_dwordx2 v[73:74], v95, s[8:9] offset:1936
	global_load_dwordx2 v[77:78], v[8:9], off offset:1824
	global_load_dwordx2 v[75:76], v[16:17], off offset:632
	global_load_dwordx2 v[8:9], v[12:13], off
	global_load_dwordx2 v[12:13], v[0:1], off
	s_load_dwordx2 s[12:13], s[4:5], 0x38
	v_add_nc_u32_e32 v19, s0, v19
	v_add_co_u32 v0, vcc_lo, v18, s6
	v_add_co_u32 v42, s0, 0xf2, v96
	v_add_co_ci_u32_e32 v1, vcc_lo, s1, v19, vcc_lo
	global_load_dwordx2 v[18:19], v[18:19], off
	v_add_co_u32 v20, vcc_lo, v0, s6
	v_add_co_ci_u32_e32 v21, vcc_lo, s1, v1, vcc_lo
	global_load_dwordx2 v[81:82], v[10:11], off offset:744
	global_load_dwordx2 v[10:11], v[0:1], off
	global_load_dwordx2 v[83:84], v[16:17], off offset:1600
	global_load_dwordx2 v[16:17], v[20:21], off
	v_add_nc_u32_e32 v1, 0x400, v95
	v_add_co_u32 v43, s1, 0x79, v96
	v_add_nc_u32_e32 v0, 0x1800, v95
	s_load_dwordx4 s[4:7], s[2:3], 0x0
	v_cmp_gt_u16_e32 vcc_lo, 0x63, v32
	s_waitcnt vmcnt(15)
	v_mul_f32_e32 v20, v15, v88
	s_waitcnt vmcnt(14)
	v_mul_f32_e32 v22, v3, v90
	v_mul_f32_e32 v21, v2, v90
	;; [unrolled: 1-line block ×3, first 2 shown]
	v_fmac_f32_e32 v20, v14, v87
	v_fmac_f32_e32 v22, v2, v89
	v_fma_f32 v23, v3, v89, -v21
	v_fma_f32 v21, v15, v87, -v24
	ds_write_b64 v95, v[22:23] offset:2904
	s_waitcnt vmcnt(12)
	v_mul_f32_e32 v2, v5, v80
	v_mul_f32_e32 v3, v4, v80
	s_waitcnt vmcnt(10)
	v_mul_f32_e32 v14, v7, v86
	v_mul_f32_e32 v15, v6, v86
	v_fmac_f32_e32 v2, v4, v79
	s_waitcnt vmcnt(6)
	v_mul_f32_e32 v4, v9, v78
	v_fma_f32 v3, v5, v79, -v3
	v_mul_f32_e32 v5, v8, v78
	v_fmac_f32_e32 v14, v6, v85
	v_fma_f32 v15, v7, v85, -v15
	s_waitcnt vmcnt(5)
	v_mul_f32_e32 v6, v13, v76
	v_mul_f32_e32 v7, v12, v76
	v_fmac_f32_e32 v4, v8, v77
	v_fma_f32 v5, v9, v77, -v5
	v_fmac_f32_e32 v6, v12, v75
	v_fma_f32 v7, v13, v75, -v7
	s_waitcnt vmcnt(4)
	v_mul_f32_e32 v8, v19, v74
	v_mul_f32_e32 v9, v18, v74
	s_waitcnt vmcnt(2)
	v_mul_f32_e32 v12, v11, v82
	v_mul_f32_e32 v13, v10, v82
	v_fmac_f32_e32 v8, v18, v73
	s_waitcnt vmcnt(0)
	v_mul_f32_e32 v18, v17, v84
	v_mul_f32_e32 v22, v16, v84
	v_fma_f32 v9, v19, v73, -v9
	v_fmac_f32_e32 v12, v10, v81
	v_fma_f32 v13, v11, v81, -v13
	v_fmac_f32_e32 v18, v16, v83
	v_fma_f32 v19, v17, v83, -v22
	v_add_co_ci_u32_e64 v10, null, 0, 0, s1
	v_add_co_ci_u32_e64 v10, null, 0, 0, s0
	ds_write_b64 v95, v[2:3] offset:5808
	ds_write2_b64 v95, v[20:21], v[14:15] offset1:121
	ds_write_b64 v95, v[8:9] offset:1936
	ds_write2_b64 v35, v[4:5], v[12:13] offset0:100 offset1:221
	ds_write2_b64 v0, v[6:7], v[18:19] offset0:79 offset1:200
	s_waitcnt lgkmcnt(0)
	s_barrier
	buffer_gl0_inv
	ds_read2_b64 v[28:31], v95 offset1:121
	ds_read2_b64 v[24:27], v1 offset0:114 offset1:235
	ds_read2_b64 v[2:5], v36 offset0:86 offset1:207
	;; [unrolled: 1-line block ×3, first 2 shown]
	ds_read_b64 v[10:11], v95 offset:7744
	v_mul_u32_u24_e32 v12, 3, v43
	v_mul_u32_u24_e32 v13, 3, v42
	s_waitcnt lgkmcnt(0)
	s_barrier
	buffer_gl0_inv
	v_lshlrev_b32_e32 v100, 3, v12
	v_lshlrev_b32_e32 v99, 3, v13
	v_add_f32_e32 v12, v28, v26
	v_add_f32_e32 v13, v26, v2
	v_sub_f32_e32 v14, v27, v3
	v_add_f32_e32 v15, v29, v27
	v_add_f32_e32 v16, v27, v3
	v_sub_f32_e32 v17, v26, v2
	v_add_f32_e32 v19, v6, v4
	v_sub_f32_e32 v26, v7, v5
	v_add_f32_e32 v22, v31, v7
	v_add_f32_e32 v7, v7, v5
	;; [unrolled: 1-line block ×4, first 2 shown]
	v_sub_f32_e32 v39, v9, v11
	v_add_f32_e32 v9, v9, v11
	v_add_f32_e32 v18, v30, v6
	v_sub_f32_e32 v6, v6, v4
	v_add_f32_e32 v23, v24, v8
	v_sub_f32_e32 v8, v8, v10
	v_add_f32_e32 v37, v32, v11
	v_fma_f32 v32, -0.5, v13, v28
	v_fma_f32 v33, -0.5, v16, v29
	;; [unrolled: 1-line block ×3, first 2 shown]
	v_fmac_f32_e32 v31, -0.5, v7
	v_fma_f32 v24, -0.5, v27, v24
	v_fmac_f32_e32 v25, -0.5, v9
	v_add_f32_e32 v20, v12, v2
	v_add_f32_e32 v21, v15, v3
	;; [unrolled: 1-line block ×5, first 2 shown]
	v_fmamk_f32 v22, v14, 0x3f5db3d7, v32
	v_fmac_f32_e32 v32, 0xbf5db3d7, v14
	v_fmamk_f32 v23, v17, 0xbf5db3d7, v33
	v_fmac_f32_e32 v33, 0x3f5db3d7, v17
	;; [unrolled: 2-line block ×6, first 2 shown]
	ds_write2_b64 v101, v[20:21], v[22:23] offset1:1
	ds_write_b64 v101, v[32:33] offset:16
	ds_write2_b64 v100, v[34:35], v[28:29] offset1:1
	ds_write_b64 v100, v[30:31] offset:16
	;; [unrolled: 2-line block ×3, first 2 shown]
	s_waitcnt lgkmcnt(0)
	s_barrier
	buffer_gl0_inv
	s_and_saveexec_b32 s0, vcc_lo
	s_cbranch_execz .LBB0_3
; %bb.2:
	v_add_nc_u32_e32 v2, 0x800, v95
	ds_read2_b64 v[32:35], v1 offset0:70 offset1:169
	ds_read2_b64 v[28:31], v2 offset0:140 offset1:239
	v_add_nc_u32_e32 v1, 0x1000, v95
	ds_read2_b64 v[20:23], v95 offset1:99
	ds_read2_b64 v[24:27], v0 offset0:24 offset1:123
	ds_read_b64 v[40:41], v95 offset:7920
	ds_read2_b64 v[36:39], v1 offset0:82 offset1:181
.LBB0_3:
	s_or_b32 exec_lo, exec_lo, s0
	v_and_b32_e32 v44, 0xff, v96
	v_mul_lo_u16 v0, 0xab, v44
	v_lshrrev_b16 v98, 9, v0
	v_mul_lo_u16 v0, v98, 3
	v_sub_nc_u16 v0, v96, v0
	v_and_b32_e32 v97, 0xff, v0
	v_mul_u32_u24_e32 v0, 10, v97
	v_lshlrev_b32_e32 v8, 3, v0
	s_clause 0x4
	global_load_dwordx4 v[16:19], v8, s[10:11]
	global_load_dwordx4 v[12:15], v8, s[10:11] offset:16
	global_load_dwordx4 v[4:7], v8, s[10:11] offset:32
	;; [unrolled: 1-line block ×4, first 2 shown]
	s_waitcnt vmcnt(0) lgkmcnt(0)
	s_barrier
	buffer_gl0_inv
	v_mul_f32_e32 v56, v23, v17
	v_mul_f32_e32 v55, v22, v17
	;; [unrolled: 1-line block ×11, first 2 shown]
	v_fma_f32 v58, v32, v18, -v54
	v_fma_f32 v54, v30, v4, -v59
	;; [unrolled: 1-line block ×3, first 2 shown]
	v_fmac_f32_e32 v55, v23, v16
	v_fma_f32 v56, v28, v14, -v60
	v_fmac_f32_e32 v46, v41, v10
	v_fma_f32 v28, v40, v10, -v65
	v_mul_f32_e32 v57, v35, v13
	v_mul_f32_e32 v52, v34, v13
	;; [unrolled: 1-line block ×5, first 2 shown]
	v_fmac_f32_e32 v53, v33, v18
	v_fmac_f32_e32 v45, v27, v8
	v_fma_f32 v32, v26, v8, -v64
	v_sub_f32_e32 v65, v55, v46
	v_sub_f32_e32 v70, v59, v28
	v_mul_f32_e32 v49, v36, v7
	v_mul_f32_e32 v62, v39, v1
	;; [unrolled: 1-line block ×3, first 2 shown]
	v_fma_f32 v57, v34, v12, -v57
	v_fmac_f32_e32 v52, v35, v12
	v_fma_f32 v35, v36, v6, -v61
	v_fma_f32 v36, v24, v2, -v63
	v_fmac_f32_e32 v47, v25, v2
	v_add_f32_e32 v23, v59, v28
	v_sub_f32_e32 v64, v53, v45
	v_add_f32_e32 v26, v55, v46
	v_sub_f32_e32 v71, v58, v32
	v_mul_f32_e32 v63, 0xbf0a6770, v65
	v_mul_f32_e32 v68, 0xbf0a6770, v70
	;; [unrolled: 1-line block ×5, first 2 shown]
	v_fmac_f32_e32 v51, v29, v14
	v_fma_f32 v34, v38, v0, -v62
	v_fmac_f32_e32 v48, v39, v0
	v_add_f32_e32 v22, v58, v32
	v_add_f32_e32 v24, v53, v45
	v_sub_f32_e32 v67, v52, v47
	v_sub_f32_e32 v102, v57, v36
	v_mul_f32_e32 v60, 0xbf68dda4, v64
	v_mul_f32_e32 v62, 0xbf68dda4, v71
	;; [unrolled: 1-line block ×4, first 2 shown]
	v_fmamk_f32 v91, v23, 0x3f575c64, v63
	v_fma_f32 v93, 0x3f575c64, v26, -v68
	v_fmamk_f32 v121, v23, 0x3ed4b147, v104
	v_fma_f32 v123, 0x3ed4b147, v26, -v114
	v_fmac_f32_e32 v50, v31, v4
	v_fmac_f32_e32 v49, v37, v6
	v_add_f32_e32 v25, v57, v36
	v_add_f32_e32 v29, v52, v47
	v_sub_f32_e32 v66, v51, v48
	v_sub_f32_e32 v112, v56, v34
	v_mul_f32_e32 v40, 0xbf7d64f0, v67
	v_mul_f32_e32 v61, 0xbf7d64f0, v102
	;; [unrolled: 1-line block ×4, first 2 shown]
	v_fmamk_f32 v92, v22, 0x3ed4b147, v60
	v_fma_f32 v94, 0x3ed4b147, v24, -v62
	v_fmamk_f32 v122, v22, 0xbf27a4f4, v103
	v_fma_f32 v124, 0xbf27a4f4, v24, -v108
	v_add_f32_e32 v91, v20, v91
	v_add_f32_e32 v93, v21, v93
	;; [unrolled: 1-line block ×6, first 2 shown]
	v_sub_f32_e32 v69, v50, v49
	v_sub_f32_e32 v113, v54, v35
	v_mul_f32_e32 v39, 0xbf4178ce, v66
	v_mul_f32_e32 v41, 0xbf4178ce, v112
	;; [unrolled: 1-line block ×4, first 2 shown]
	v_fmamk_f32 v115, v25, 0xbe11bafb, v40
	v_fma_f32 v116, 0xbe11bafb, v29, -v61
	v_fmamk_f32 v125, v25, 0xbf75a155, v105
	v_fma_f32 v126, 0xbf75a155, v29, -v109
	v_add_f32_e32 v91, v92, v91
	v_add_f32_e32 v92, v94, v93
	v_add_f32_e32 v93, v122, v121
	v_add_f32_e32 v94, v124, v123
	v_add_f32_e32 v31, v54, v35
	v_add_f32_e32 v33, v50, v49
	v_mul_f32_e32 v37, 0xbe903f40, v69
	v_mul_f32_e32 v38, 0xbe903f40, v113
	;; [unrolled: 1-line block ×4, first 2 shown]
	v_fmamk_f32 v117, v27, 0xbf27a4f4, v39
	v_fma_f32 v118, 0xbf27a4f4, v30, -v41
	v_fmamk_f32 v127, v27, 0xbe11bafb, v106
	v_fma_f32 v128, 0xbe11bafb, v30, -v110
	v_add_f32_e32 v91, v115, v91
	v_add_f32_e32 v92, v116, v92
	;; [unrolled: 1-line block ×4, first 2 shown]
	v_fmamk_f32 v119, v31, 0xbf75a155, v37
	v_fma_f32 v120, 0xbf75a155, v33, -v38
	v_fmamk_f32 v121, v31, 0x3f575c64, v107
	v_fma_f32 v115, 0x3f575c64, v33, -v111
	v_add_f32_e32 v91, v117, v91
	v_add_f32_e32 v92, v118, v92
	;; [unrolled: 1-line block ×8, first 2 shown]
	s_and_saveexec_b32 s0, vcc_lo
	s_cbranch_execz .LBB0_5
; %bb.4:
	v_mul_f32_e32 v126, 0xbe903f40, v70
	v_mul_f32_e32 v131, 0x3f0a6770, v71
	;; [unrolled: 1-line block ×5, first 2 shown]
	v_fmamk_f32 v115, v26, 0xbf75a155, v126
	v_fmamk_f32 v116, v24, 0x3f575c64, v131
	v_mul_f32_e32 v143, 0xbf7d64f0, v113
	v_mul_f32_e32 v145, 0x3f0a6770, v64
	v_fma_f32 v117, 0xbf75a155, v23, -v142
	v_add_f32_e32 v115, v21, v115
	v_mul_f32_e32 v146, 0xbf4178ce, v70
	v_mul_f32_e32 v120, 0x3f575c64, v26
	v_add_f32_e32 v55, v21, v55
	v_add_f32_e32 v117, v20, v117
	;; [unrolled: 1-line block ×3, first 2 shown]
	v_fmamk_f32 v116, v29, 0xbf27a4f4, v135
	v_fma_f32 v118, 0x3f575c64, v22, -v145
	v_mul_f32_e32 v147, 0xbf4178ce, v67
	v_mul_f32_e32 v148, 0x3f7d64f0, v71
	;; [unrolled: 1-line block ×3, first 2 shown]
	v_add_f32_e32 v115, v116, v115
	v_fmamk_f32 v116, v30, 0x3ed4b147, v139
	v_mul_f32_e32 v124, 0x3ed4b147, v24
	v_add_f32_e32 v68, v68, v120
	v_add_f32_e32 v53, v55, v53
	;; [unrolled: 1-line block ×4, first 2 shown]
	v_fmamk_f32 v116, v33, 0xbe11bafb, v143
	v_add_f32_e32 v117, v118, v117
	v_fma_f32 v118, 0xbf27a4f4, v25, -v147
	v_mul_f32_e32 v149, 0x3f68dda4, v66
	v_fmamk_f32 v150, v24, 0xbe11bafb, v148
	v_add_f32_e32 v116, v116, v115
	v_fmamk_f32 v115, v26, 0xbf27a4f4, v146
	v_mul_f32_e32 v151, 0xbf0a6770, v102
	v_mul_f32_e32 v123, 0x3ed4b147, v22
	;; [unrolled: 1-line block ×3, first 2 shown]
	v_sub_f32_e32 v63, v119, v63
	v_add_f32_e32 v115, v21, v115
	v_add_f32_e32 v68, v21, v68
	;; [unrolled: 1-line block ×6, first 2 shown]
	v_fma_f32 v118, 0x3ed4b147, v27, -v149
	v_mul_f32_e32 v152, 0xbf7d64f0, v69
	v_add_f32_e32 v115, v150, v115
	v_fmamk_f32 v150, v29, 0x3f575c64, v151
	v_mul_f32_e32 v153, 0xbe903f40, v112
	v_mul_f32_e32 v128, 0xbe11bafb, v25
	;; [unrolled: 1-line block ×3, first 2 shown]
	v_add_f32_e32 v62, v20, v63
	v_sub_f32_e32 v60, v123, v60
	v_add_f32_e32 v55, v59, v68
	v_add_f32_e32 v58, v61, v129
	;; [unrolled: 1-line block ×5, first 2 shown]
	v_fma_f32 v118, 0xbe11bafb, v31, -v152
	v_mul_f32_e32 v154, 0xbf4178ce, v65
	v_add_f32_e32 v150, v150, v115
	v_fmamk_f32 v155, v30, 0xbf75a155, v153
	v_mul_f32_e32 v156, 0x3f68dda4, v113
	v_mul_f32_e32 v133, 0xbf27a4f4, v27
	;; [unrolled: 1-line block ×3, first 2 shown]
	v_add_f32_e32 v59, v60, v62
	v_sub_f32_e32 v40, v128, v40
	v_add_f32_e32 v53, v58, v55
	v_add_f32_e32 v41, v41, v134
	;; [unrolled: 1-line block ×5, first 2 shown]
	v_fma_f32 v117, 0xbf27a4f4, v23, -v154
	v_mul_f32_e32 v157, 0x3f7d64f0, v64
	v_add_f32_e32 v118, v155, v150
	v_fmamk_f32 v150, v33, 0x3ed4b147, v156
	v_mul_f32_e32 v70, 0xbf7d64f0, v70
	v_mul_f32_e32 v138, 0xbf75a155, v31
	v_add_f32_e32 v40, v40, v59
	v_sub_f32_e32 v39, v133, v39
	v_add_f32_e32 v41, v41, v53
	v_add_f32_e32 v49, v50, v49
	;; [unrolled: 1-line block ×5, first 2 shown]
	v_fma_f32 v155, 0xbe11bafb, v22, -v157
	v_mul_f32_e32 v158, 0xbf0a6770, v67
	v_add_f32_e32 v118, v150, v118
	v_fmamk_f32 v150, v26, 0xbe11bafb, v70
	v_mul_f32_e32 v71, 0x3e903f40, v71
	v_add_f32_e32 v39, v39, v40
	v_sub_f32_e32 v37, v138, v37
	v_add_f32_e32 v40, v49, v48
	v_add_f32_e32 v35, v50, v35
	;; [unrolled: 1-line block ×3, first 2 shown]
	v_fma_f32 v41, 0xbf75a155, v26, -v126
	v_add_f32_e32 v117, v155, v117
	v_fma_f32 v155, 0x3f575c64, v25, -v158
	v_mul_f32_e32 v159, 0xbe903f40, v66
	v_add_f32_e32 v150, v21, v150
	v_fmamk_f32 v160, v24, 0xbf75a155, v71
	v_mul_f32_e32 v102, 0x3f68dda4, v102
	v_add_f32_e32 v37, v37, v39
	v_add_f32_e32 v39, v40, v47
	;; [unrolled: 1-line block ×4, first 2 shown]
	v_fma_f32 v40, 0x3f575c64, v24, -v131
	v_add_f32_e32 v117, v155, v117
	v_fma_f32 v155, 0xbf75a155, v27, -v159
	v_mul_f32_e32 v161, 0x3f68dda4, v69
	v_add_f32_e32 v150, v160, v150
	v_fmamk_f32 v160, v29, 0x3ed4b147, v102
	v_mul_f32_e32 v112, 0xbf0a6770, v112
	v_add_f32_e32 v39, v39, v45
	v_add_f32_e32 v34, v34, v36
	;; [unrolled: 1-line block ×3, first 2 shown]
	v_fma_f32 v41, 0xbf27a4f4, v29, -v135
	v_add_f32_e32 v117, v155, v117
	v_mul_f32_e32 v155, 0xbf7d64f0, v65
	v_fmac_f32_e32 v142, 0xbf75a155, v23
	v_fma_f32 v65, 0x3ed4b147, v31, -v161
	v_add_f32_e32 v150, v160, v150
	v_fmamk_f32 v160, v30, 0x3f575c64, v112
	v_mul_f32_e32 v113, 0xbf4178ce, v113
	v_add_f32_e32 v35, v39, v46
	v_add_f32_e32 v32, v34, v32
	v_add_f32_e32 v39, v41, v40
	v_fma_f32 v40, 0x3ed4b147, v30, -v139
	v_mul_f32_e32 v122, 0x3ed4b147, v26
	v_fma_f32 v162, 0xbe11bafb, v23, -v155
	v_add_f32_e32 v36, v20, v142
	v_fmac_f32_e32 v145, 0x3f575c64, v22
	v_mul_f32_e32 v121, 0x3ed4b147, v23
	v_mul_f32_e32 v163, 0x3e903f40, v64
	v_add_f32_e32 v117, v65, v117
	v_add_f32_e32 v64, v160, v150
	v_fmamk_f32 v65, v33, 0xbf27a4f4, v113
	v_add_f32_e32 v34, v32, v28
	v_add_f32_e32 v32, v40, v39
	v_fma_f32 v40, 0xbe11bafb, v33, -v143
	v_fmac_f32_e32 v154, 0xbf27a4f4, v23
	v_add_f32_e32 v150, v20, v162
	v_mul_f32_e32 v162, 0x3f68dda4, v67
	v_add_f32_e32 v67, v114, v122
	v_add_f32_e32 v36, v145, v36
	v_fmac_f32_e32 v147, 0xbf27a4f4, v25
	v_fma_f32 v41, 0xbf27a4f4, v26, -v146
	v_fma_f32 v26, 0xbe11bafb, v26, -v70
	v_mul_f32_e32 v125, 0xbf27a4f4, v22
	v_mul_f32_e32 v127, 0xbf27a4f4, v24
	v_fma_f32 v160, 0xbf75a155, v22, -v163
	v_add_f32_e32 v65, v65, v64
	v_sub_f32_e32 v64, v121, v104
	v_add_f32_e32 v40, v40, v32
	v_add_f32_e32 v32, v20, v154
	v_fmac_f32_e32 v157, 0xbe11bafb, v22
	v_fmac_f32_e32 v155, 0xbe11bafb, v23
	v_add_f32_e32 v67, v21, v67
	v_add_f32_e32 v28, v147, v36
	;; [unrolled: 1-line block ×3, first 2 shown]
	v_fma_f32 v39, 0xbe11bafb, v24, -v148
	v_add_f32_e32 v21, v21, v26
	v_fma_f32 v24, 0xbf75a155, v24, -v71
	v_mul_f32_e32 v130, 0xbf75a155, v25
	v_mul_f32_e32 v132, 0xbf75a155, v29
	v_add_f32_e32 v104, v160, v150
	v_fma_f32 v114, 0x3ed4b147, v25, -v162
	v_add_f32_e32 v108, v108, v127
	v_add_f32_e32 v64, v20, v64
	v_sub_f32_e32 v103, v125, v103
	v_fmac_f32_e32 v149, 0x3ed4b147, v27
	v_add_f32_e32 v32, v157, v32
	v_fmac_f32_e32 v158, 0x3f575c64, v25
	v_add_f32_e32 v20, v20, v155
	;; [unrolled: 2-line block ×3, first 2 shown]
	v_fma_f32 v22, 0x3ed4b147, v29, -v102
	v_mul_f32_e32 v136, 0xbe11bafb, v27
	v_mul_f32_e32 v137, 0xbe11bafb, v30
	v_add_f32_e32 v104, v114, v104
	v_mul_f32_e32 v114, 0xbf0a6770, v66
	v_add_f32_e32 v66, v108, v67
	v_add_f32_e32 v67, v109, v132
	;; [unrolled: 1-line block ×3, first 2 shown]
	v_sub_f32_e32 v103, v130, v105
	v_add_f32_e32 v28, v149, v28
	v_fmac_f32_e32 v152, 0xbe11bafb, v31
	v_add_f32_e32 v36, v39, v36
	v_fma_f32 v41, 0x3f575c64, v29, -v151
	v_add_f32_e32 v26, v158, v32
	v_fmac_f32_e32 v159, 0xbf75a155, v27
	v_add_f32_e32 v20, v163, v20
	v_fmac_f32_e32 v162, 0x3ed4b147, v25
	v_add_f32_e32 v21, v22, v21
	v_mov_b32_e32 v22, 33
	v_mul_f32_e32 v141, 0x3f575c64, v31
	v_mul_f32_e32 v144, 0x3f575c64, v33
	v_fma_f32 v105, 0x3f575c64, v27, -v114
	v_mul_f32_e32 v69, 0xbf4178ce, v69
	v_add_f32_e32 v66, v67, v66
	v_add_f32_e32 v67, v110, v137
	;; [unrolled: 1-line block ×3, first 2 shown]
	v_sub_f32_e32 v103, v136, v106
	v_add_f32_e32 v39, v152, v28
	v_add_f32_e32 v28, v41, v36
	v_fma_f32 v36, 0xbf75a155, v30, -v153
	v_add_f32_e32 v25, v159, v26
	v_fma_f32 v26, 0x3f575c64, v30, -v112
	v_add_f32_e32 v20, v162, v20
	v_fmac_f32_e32 v114, 0x3f575c64, v27
	v_mul_u32_u24_sdwa v22, v98, v22 dst_sel:DWORD dst_unused:UNUSED_PAD src0_sel:WORD_0 src1_sel:DWORD
	v_add_f32_e32 v104, v105, v104
	v_fma_f32 v105, 0xbf27a4f4, v31, -v69
	v_add_f32_e32 v66, v67, v66
	v_add_f32_e32 v67, v111, v144
	;; [unrolled: 1-line block ×3, first 2 shown]
	v_sub_f32_e32 v106, v141, v107
	v_add_f32_e32 v23, v36, v28
	v_fma_f32 v24, 0x3ed4b147, v33, -v156
	v_fmac_f32_e32 v161, 0x3ed4b147, v31
	v_add_f32_e32 v26, v26, v21
	v_fma_f32 v27, 0xbf27a4f4, v33, -v113
	v_add_f32_e32 v28, v114, v20
	v_fmac_f32_e32 v69, 0xbf27a4f4, v31
	v_add_lshl_u32 v29, v22, v97, 3
	v_add_f32_e32 v64, v105, v104
	v_add_f32_e32 v67, v67, v66
	;; [unrolled: 1-line block ×7, first 2 shown]
	ds_write2_b64 v29, v[34:35], v[37:38] offset1:3
	ds_write2_b64 v29, v[66:67], v[64:65] offset0:6 offset1:9
	ds_write2_b64 v29, v[117:118], v[115:116] offset0:12 offset1:15
	;; [unrolled: 1-line block ×4, first 2 shown]
	ds_write_b64 v29, v[91:92] offset:240
.LBB0_5:
	s_or_b32 exec_lo, exec_lo, s0
	v_mul_lo_u16 v20, 0xf9, v44
	v_and_b32_e32 v21, 0xff, v43
	v_mov_b32_e32 v22, 0xf83f
	s_waitcnt lgkmcnt(0)
	s_barrier
	v_lshrrev_b16 v23, 13, v20
	v_mul_lo_u16 v20, 0xf9, v21
	v_mul_u32_u24_sdwa v21, v42, v22 dst_sel:DWORD dst_unused:UNUSED_PAD src0_sel:WORD_0 src1_sel:DWORD
	buffer_gl0_inv
	v_mov_b32_e32 v48, 0x63
	v_mul_lo_u16 v22, v23, 33
	v_lshrrev_b16 v44, 13, v20
	v_lshrrev_b32_e32 v45, 21, v21
	v_mov_b32_e32 v49, 3
	v_mul_u32_u24_sdwa v23, v23, v48 dst_sel:DWORD dst_unused:UNUSED_PAD src0_sel:WORD_0 src1_sel:DWORD
	v_sub_nc_u16 v20, v96, v22
	v_mul_lo_u16 v21, v44, 33
	v_mul_lo_u16 v22, v45, 33
	v_mul_u32_u24_sdwa v44, v44, v48 dst_sel:DWORD dst_unused:UNUSED_PAD src0_sel:WORD_0 src1_sel:DWORD
	v_and_b32_e32 v46, 0xff, v20
	v_sub_nc_u16 v20, v43, v21
	v_sub_nc_u16 v22, v42, v22
	v_lshlrev_b32_e32 v21, 4, v46
	v_and_b32_e32 v47, 0xff, v20
	v_lshlrev_b16 v20, 4, v22
	v_mad_u16 v45, 0x63, v45, v22
	v_add_lshl_u32 v104, v23, v46, 3
	global_load_dwordx4 v[32:35], v21, s[10:11] offset:240
	v_lshlrev_b32_e32 v21, 4, v47
	v_and_b32_e32 v20, 0xffff, v20
	v_add_lshl_u32 v103, v44, v47, 3
	v_lshlrev_b32_sdwa v102, v49, v45 dst_sel:DWORD dst_unused:UNUSED_PAD src0_sel:DWORD src1_sel:WORD_0
	global_load_dwordx4 v[24:27], v21, s[10:11] offset:240
	v_add_co_u32 v20, s0, s10, v20
	v_add_co_ci_u32_e64 v21, null, s11, 0, s0
	global_load_dwordx4 v[28:31], v[20:21], off offset:240
	v_add_nc_u32_e32 v20, 0x400, v95
	v_add_nc_u32_e32 v21, 0x1400, v95
	ds_read2_b64 v[56:59], v20 offset0:114 offset1:235
	ds_read2_b64 v[36:39], v21 offset0:86 offset1:207
	v_add_nc_u32_e32 v21, 0xc00, v95
	ds_read2_b64 v[40:43], v21 offset0:100 offset1:221
	ds_read2_b64 v[60:63], v95 offset1:121
	ds_read_b64 v[21:22], v95 offset:7744
	s_waitcnt vmcnt(0) lgkmcnt(0)
	s_barrier
	buffer_gl0_inv
	v_mul_f32_e32 v23, v59, v33
	v_mul_f32_e32 v44, v58, v33
	;; [unrolled: 1-line block ×4, first 2 shown]
	v_fma_f32 v23, v58, v32, -v23
	v_fmac_f32_e32 v44, v59, v32
	v_fma_f32 v36, v36, v34, -v45
	v_mul_f32_e32 v45, v41, v25
	v_mul_f32_e32 v47, v40, v25
	;; [unrolled: 1-line block ×4, first 2 shown]
	v_fmac_f32_e32 v46, v37, v34
	v_fma_f32 v37, v40, v24, -v45
	v_fmac_f32_e32 v47, v41, v24
	v_fma_f32 v38, v38, v26, -v48
	v_fmac_f32_e32 v49, v39, v26
	v_mul_f32_e32 v39, v43, v29
	v_mul_f32_e32 v40, v42, v29
	;; [unrolled: 1-line block ×4, first 2 shown]
	v_add_f32_e32 v48, v60, v23
	v_sub_f32_e32 v51, v44, v46
	v_add_f32_e32 v53, v61, v44
	v_add_f32_e32 v44, v44, v46
	;; [unrolled: 1-line block ×3, first 2 shown]
	v_sub_f32_e32 v23, v23, v36
	v_fma_f32 v39, v42, v28, -v39
	v_fmac_f32_e32 v40, v43, v28
	v_fma_f32 v21, v21, v30, -v41
	v_fmac_f32_e32 v45, v22, v30
	v_add_f32_e32 v52, v48, v36
	v_fma_f32 v65, -0.5, v44, v61
	v_add_f32_e32 v22, v62, v37
	v_add_f32_e32 v36, v37, v38
	;; [unrolled: 1-line block ×3, first 2 shown]
	v_sub_f32_e32 v37, v37, v38
	v_fmamk_f32 v55, v23, 0xbf5db3d7, v65
	v_fmac_f32_e32 v65, 0x3f5db3d7, v23
	v_add_f32_e32 v66, v22, v38
	v_fma_f32 v62, -0.5, v36, v62
	v_add_f32_e32 v23, v39, v21
	v_sub_f32_e32 v36, v40, v45
	v_add_f32_e32 v38, v57, v40
	v_add_f32_e32 v40, v40, v45
	v_fma_f32 v64, -0.5, v50, v60
	v_sub_f32_e32 v41, v47, v49
	v_add_f32_e32 v42, v63, v47
	v_fmac_f32_e32 v63, -0.5, v43
	v_add_f32_e32 v22, v56, v39
	v_sub_f32_e32 v39, v39, v21
	v_fma_f32 v56, -0.5, v23, v56
	v_fmac_f32_e32 v57, -0.5, v40
	v_add_f32_e32 v53, v53, v46
	v_fmamk_f32 v54, v51, 0x3f5db3d7, v64
	v_fmac_f32_e32 v64, 0xbf5db3d7, v51
	v_add_f32_e32 v67, v42, v49
	v_fmamk_f32 v60, v41, 0x3f5db3d7, v62
	v_fmac_f32_e32 v62, 0xbf5db3d7, v41
	v_fmamk_f32 v61, v37, 0xbf5db3d7, v63
	v_fmac_f32_e32 v63, 0x3f5db3d7, v37
	v_add_f32_e32 v68, v22, v21
	v_add_f32_e32 v69, v38, v45
	v_fmamk_f32 v70, v36, 0x3f5db3d7, v56
	v_fmac_f32_e32 v56, 0xbf5db3d7, v36
	v_fmamk_f32 v71, v39, 0xbf5db3d7, v57
	v_fmac_f32_e32 v57, 0x3f5db3d7, v39
	ds_write2_b64 v104, v[52:53], v[54:55] offset1:33
	ds_write_b64 v104, v[64:65] offset:528
	ds_write2_b64 v103, v[66:67], v[60:61] offset1:33
	ds_write_b64 v103, v[62:63] offset:528
	;; [unrolled: 2-line block ×3, first 2 shown]
	s_waitcnt lgkmcnt(0)
	s_barrier
	buffer_gl0_inv
	s_and_saveexec_b32 s0, vcc_lo
	s_cbranch_execz .LBB0_7
; %bb.6:
	v_add_nc_u32_e32 v21, 0x1800, v95
	v_add_nc_u32_e32 v22, 0x800, v95
	ds_read2_b64 v[56:59], v21 offset0:24 offset1:123
	v_add_nc_u32_e32 v21, 0x1000, v95
	ds_read2_b64 v[52:55], v95 offset1:99
	ds_read2_b64 v[64:67], v20 offset0:70 offset1:169
	ds_read_b64 v[91:92], v95 offset:7920
	ds_read2_b64 v[60:63], v22 offset0:140 offset1:239
	ds_read2_b64 v[68:71], v21 offset0:82 offset1:181
	s_waitcnt lgkmcnt(5)
	v_mov_b32_e32 v93, v58
	v_mov_b32_e32 v94, v59
.LBB0_7:
	s_or_b32 exec_lo, exec_lo, s0
	v_add_nc_u32_e32 v20, 0xffffff9d, v96
	v_cndmask_b32_e32 v20, v20, v96, vcc_lo
	v_mul_i32_i24_e32 v21, 0x50, v20
	v_mul_hi_i32_i24_e32 v20, 0x50, v20
	v_add_co_u32 v48, s0, s10, v21
	v_add_co_ci_u32_e64 v49, s0, s11, v20, s0
	s_clause 0x4
	global_load_dwordx4 v[44:47], v[48:49], off offset:768
	global_load_dwordx4 v[40:43], v[48:49], off offset:784
	global_load_dwordx4 v[20:23], v[48:49], off offset:800
	global_load_dwordx4 v[36:39], v[48:49], off offset:816
	global_load_dwordx4 v[48:51], v[48:49], off offset:832
	s_waitcnt vmcnt(4) lgkmcnt(4)
	v_mul_f32_e32 v58, v55, v45
	v_mul_f32_e32 v117, v54, v45
	s_waitcnt vmcnt(3) lgkmcnt(1)
	v_mul_f32_e32 v111, v60, v43
	v_mul_f32_e32 v59, v65, v47
	s_waitcnt vmcnt(0)
	v_mul_f32_e32 v125, v92, v51
	v_mul_f32_e32 v105, v91, v51
	;; [unrolled: 1-line block ×6, first 2 shown]
	v_fma_f32 v119, v54, v44, -v58
	v_fmac_f32_e32 v117, v55, v44
	v_fmac_f32_e32 v111, v61, v42
	v_fma_f32 v61, v91, v50, -v125
	v_fmac_f32_e32 v105, v92, v50
	v_mul_f32_e32 v112, v67, v41
	v_mul_f32_e32 v113, v66, v41
	;; [unrolled: 1-line block ×4, first 2 shown]
	v_fma_f32 v118, v64, v46, -v59
	v_fmac_f32_e32 v115, v65, v46
	v_fma_f32 v65, v93, v48, -v124
	v_fmac_f32_e32 v106, v94, v48
	v_sub_f32_e32 v135, v119, v61
	v_sub_f32_e32 v128, v117, v105
	s_waitcnt lgkmcnt(0)
	v_mul_f32_e32 v121, v69, v23
	v_mul_f32_e32 v122, v71, v37
	;; [unrolled: 1-line block ×3, first 2 shown]
	v_fma_f32 v116, v66, v40, -v112
	v_fmac_f32_e32 v113, v67, v40
	v_fma_f32 v66, v56, v38, -v123
	v_fmac_f32_e32 v107, v57, v38
	v_add_f32_e32 v54, v119, v61
	v_add_f32_e32 v56, v117, v105
	v_sub_f32_e32 v141, v118, v65
	v_sub_f32_e32 v130, v115, v106
	v_mul_f32_e32 v124, 0xbf0a6770, v128
	v_mul_f32_e32 v129, 0xbf0a6770, v135
	;; [unrolled: 1-line block ×7, first 2 shown]
	v_fma_f32 v114, v60, v42, -v114
	v_fma_f32 v68, v68, v22, -v121
	v_fma_f32 v67, v70, v36, -v122
	v_fmac_f32_e32 v108, v71, v36
	v_add_f32_e32 v55, v118, v65
	v_add_f32_e32 v57, v115, v106
	v_sub_f32_e32 v143, v116, v66
	v_sub_f32_e32 v131, v113, v107
	v_mul_f32_e32 v121, 0xbf68dda4, v130
	v_mul_f32_e32 v125, 0xbf68dda4, v141
	;; [unrolled: 1-line block ×4, first 2 shown]
	v_fmamk_f32 v91, v54, 0x3f575c64, v124
	v_fma_f32 v92, 0x3f575c64, v56, -v129
	v_fmamk_f32 v93, v54, 0x3ed4b147, v137
	v_fma_f32 v94, 0x3ed4b147, v56, -v144
	v_fma_f32 v112, v62, v20, -v120
	v_fmac_f32_e32 v110, v63, v20
	v_fmac_f32_e32 v109, v69, v22
	v_add_f32_e32 v58, v116, v66
	v_add_f32_e32 v59, v113, v107
	v_sub_f32_e32 v145, v114, v67
	v_sub_f32_e32 v132, v111, v108
	v_mul_f32_e32 v71, 0xbf7d64f0, v131
	v_mul_f32_e32 v123, 0xbf7d64f0, v143
	;; [unrolled: 1-line block ×4, first 2 shown]
	v_fmamk_f32 v147, v55, 0x3ed4b147, v121
	v_fma_f32 v148, 0x3ed4b147, v57, -v125
	v_fmamk_f32 v149, v55, 0xbf27a4f4, v136
	v_fma_f32 v150, 0xbf27a4f4, v57, -v142
	v_add_f32_e32 v91, v52, v91
	v_add_f32_e32 v92, v53, v92
	;; [unrolled: 1-line block ×6, first 2 shown]
	v_sub_f32_e32 v146, v112, v68
	v_sub_f32_e32 v134, v110, v109
	v_mul_f32_e32 v70, 0xbf4178ce, v132
	v_mul_f32_e32 v122, 0xbf4178ce, v145
	;; [unrolled: 1-line block ×4, first 2 shown]
	v_fmamk_f32 v151, v58, 0xbe11bafb, v71
	v_fma_f32 v152, 0xbe11bafb, v59, -v123
	v_fmamk_f32 v153, v58, 0xbf75a155, v133
	v_fma_f32 v154, 0xbf75a155, v59, -v139
	v_add_f32_e32 v91, v147, v91
	v_add_f32_e32 v92, v148, v92
	;; [unrolled: 1-line block ×6, first 2 shown]
	v_mul_f32_e32 v69, 0xbe903f40, v134
	v_mul_f32_e32 v120, 0xbe903f40, v146
	;; [unrolled: 1-line block ×4, first 2 shown]
	v_fmamk_f32 v155, v60, 0xbf27a4f4, v70
	v_fma_f32 v156, 0xbf27a4f4, v62, -v122
	v_fmamk_f32 v157, v60, 0xbe11bafb, v126
	v_fma_f32 v158, 0xbe11bafb, v62, -v138
	v_add_f32_e32 v91, v151, v91
	v_add_f32_e32 v92, v152, v92
	;; [unrolled: 1-line block ×4, first 2 shown]
	v_fmamk_f32 v159, v63, 0xbf75a155, v69
	v_fma_f32 v160, 0xbf75a155, v64, -v120
	v_fmamk_f32 v147, v63, 0x3f575c64, v127
	v_fma_f32 v148, 0x3f575c64, v64, -v140
	v_add_f32_e32 v91, v155, v91
	v_add_f32_e32 v92, v156, v92
	;; [unrolled: 1-line block ×8, first 2 shown]
	s_and_saveexec_b32 s0, vcc_lo
	s_cbranch_execz .LBB0_9
; %bb.8:
	v_mul_f32_e32 v153, 0x3ed4b147, v54
	v_mul_f32_e32 v160, 0xbe903f40, v135
	;; [unrolled: 1-line block ×5, first 2 shown]
	v_sub_f32_e32 v137, v153, v137
	v_fmamk_f32 v147, v56, 0xbf75a155, v160
	v_mul_f32_e32 v169, 0xbf4178ce, v143
	v_fmamk_f32 v148, v57, 0x3f575c64, v165
	v_mul_f32_e32 v172, 0xbe903f40, v128
	v_add_f32_e32 v137, v52, v137
	v_add_f32_e32 v147, v53, v147
	v_sub_f32_e32 v136, v157, v136
	v_mul_f32_e32 v173, 0x3f68dda4, v145
	v_fma_f32 v149, 0xbf75a155, v54, -v172
	v_mul_f32_e32 v175, 0x3f0a6770, v130
	v_add_f32_e32 v147, v148, v147
	v_fmamk_f32 v148, v59, 0xbf27a4f4, v169
	v_add_f32_e32 v136, v136, v137
	v_sub_f32_e32 v133, v162, v133
	v_add_f32_e32 v149, v52, v149
	v_fma_f32 v150, 0x3f575c64, v55, -v175
	v_add_f32_e32 v147, v148, v147
	v_fmamk_f32 v148, v62, 0x3ed4b147, v173
	v_mul_f32_e32 v177, 0xbf4178ce, v131
	v_mul_f32_e32 v178, 0xbf7d64f0, v146
	v_mul_f32_e32 v179, 0xbf4178ce, v135
	v_add_f32_e32 v133, v133, v136
	v_add_f32_e32 v136, v53, v117
	v_mul_f32_e32 v152, 0x3f575c64, v56
	v_add_f32_e32 v147, v148, v147
	v_add_f32_e32 v148, v150, v149
	v_fma_f32 v149, 0xbf27a4f4, v58, -v177
	v_mul_f32_e32 v180, 0x3f68dda4, v132
	v_fmamk_f32 v150, v64, 0xbe11bafb, v178
	v_fmamk_f32 v181, v56, 0xbf27a4f4, v179
	v_mul_f32_e32 v182, 0x3f7d64f0, v141
	v_add_f32_e32 v115, v136, v115
	v_mul_f32_e32 v151, 0x3f575c64, v54
	v_mul_f32_e32 v156, 0x3ed4b147, v57
	v_add_f32_e32 v149, v149, v148
	v_fma_f32 v183, 0x3ed4b147, v60, -v180
	v_add_f32_e32 v148, v150, v147
	v_add_f32_e32 v147, v53, v181
	v_fmamk_f32 v150, v57, 0xbe11bafb, v182
	v_mul_f32_e32 v181, 0xbf0a6770, v143
	v_add_f32_e32 v129, v129, v152
	v_add_f32_e32 v113, v115, v113
	v_mul_f32_e32 v155, 0x3ed4b147, v55
	v_mul_f32_e32 v161, 0xbe11bafb, v59
	v_add_f32_e32 v149, v183, v149
	v_mul_f32_e32 v183, 0xbf7d64f0, v134
	v_mul_f32_e32 v184, 0xbf4178ce, v128
	v_add_f32_e32 v147, v150, v147
	v_fmamk_f32 v150, v59, 0x3f575c64, v181
	v_mul_f32_e32 v185, 0xbe903f40, v145
	v_add_f32_e32 v129, v53, v129
	v_add_f32_e32 v125, v125, v156
	v_sub_f32_e32 v124, v151, v124
	v_add_f32_e32 v115, v52, v119
	v_add_f32_e32 v111, v113, v111
	v_mul_f32_e32 v159, 0xbe11bafb, v58
	v_fma_f32 v186, 0xbe11bafb, v63, -v183
	v_fma_f32 v187, 0xbf27a4f4, v54, -v184
	v_mul_f32_e32 v188, 0x3f7d64f0, v130
	v_add_f32_e32 v150, v150, v147
	v_fmamk_f32 v189, v62, 0xbf75a155, v185
	v_add_f32_e32 v125, v125, v129
	v_add_f32_e32 v119, v123, v161
	;; [unrolled: 1-line block ×3, first 2 shown]
	v_sub_f32_e32 v121, v155, v121
	v_add_f32_e32 v113, v115, v118
	v_add_f32_e32 v110, v111, v110
	v_mul_f32_e32 v164, 0xbf27a4f4, v60
	v_add_f32_e32 v147, v186, v149
	v_add_f32_e32 v149, v52, v187
	v_fma_f32 v186, 0xbe11bafb, v55, -v188
	v_mul_f32_e32 v187, 0xbf0a6770, v131
	v_add_f32_e32 v150, v189, v150
	v_mul_f32_e32 v189, 0x3f68dda4, v146
	v_mul_f32_e32 v135, 0xbf7d64f0, v135
	v_add_f32_e32 v115, v119, v125
	v_add_f32_e32 v119, v121, v123
	v_add_f32_e32 v111, v113, v116
	v_sub_f32_e32 v71, v159, v71
	v_add_f32_e32 v109, v110, v109
	v_mul_f32_e32 v170, 0xbf75a155, v63
	v_add_f32_e32 v149, v186, v149
	v_fma_f32 v186, 0x3f575c64, v58, -v187
	v_mul_f32_e32 v190, 0xbe903f40, v132
	v_fmamk_f32 v191, v64, 0x3ed4b147, v189
	v_fmamk_f32 v192, v56, 0xbe11bafb, v135
	v_mul_f32_e32 v141, 0x3e903f40, v141
	v_add_f32_e32 v110, v111, v114
	v_add_f32_e32 v71, v71, v119
	v_sub_f32_e32 v70, v164, v70
	v_add_f32_e32 v108, v109, v108
	v_add_f32_e32 v149, v186, v149
	v_fma_f32 v186, 0xbf75a155, v60, -v190
	v_add_f32_e32 v150, v191, v150
	v_add_f32_e32 v191, v53, v192
	v_fmamk_f32 v192, v57, 0xbf75a155, v141
	v_mul_f32_e32 v143, 0x3f68dda4, v143
	v_mul_f32_e32 v128, 0xbf7d64f0, v128
	v_add_f32_e32 v109, v110, v112
	v_add_f32_e32 v70, v70, v71
	v_sub_f32_e32 v71, v170, v69
	v_add_f32_e32 v107, v108, v107
	v_fma_f32 v110, 0xbf75a155, v56, -v160
	v_mul_f32_e32 v154, 0x3ed4b147, v56
	v_add_f32_e32 v149, v186, v149
	v_mul_f32_e32 v186, 0x3f68dda4, v134
	v_add_f32_e32 v191, v192, v191
	v_fmamk_f32 v192, v59, 0x3ed4b147, v143
	v_fma_f32 v194, 0xbe11bafb, v54, -v128
	v_add_f32_e32 v108, v109, v68
	v_add_f32_e32 v68, v71, v70
	;; [unrolled: 1-line block ×4, first 2 shown]
	v_fma_f32 v110, 0x3f575c64, v57, -v165
	v_mul_f32_e32 v158, 0xbf27a4f4, v57
	v_fma_f32 v193, 0x3ed4b147, v63, -v186
	v_mul_f32_e32 v195, 0x3e903f40, v130
	v_add_f32_e32 v130, v192, v191
	v_add_f32_e32 v192, v52, v194
	v_mul_f32_e32 v194, 0x3f68dda4, v131
	v_add_f32_e32 v131, v144, v154
	v_add_f32_e32 v71, v108, v67
	;; [unrolled: 1-line block ×3, first 2 shown]
	v_fma_f32 v70, 0xbf27a4f4, v56, -v179
	v_fma_f32 v56, 0xbe11bafb, v56, -v135
	v_fmac_f32_e32 v172, 0xbf75a155, v54
	v_fmac_f32_e32 v184, 0xbf27a4f4, v54
	;; [unrolled: 1-line block ×3, first 2 shown]
	v_add_f32_e32 v106, v110, v109
	v_fma_f32 v107, 0xbf27a4f4, v59, -v169
	v_mul_f32_e32 v163, 0xbf75a155, v59
	v_add_f32_e32 v149, v193, v149
	v_fma_f32 v193, 0xbf75a155, v55, -v195
	v_add_f32_e32 v131, v53, v131
	v_add_f32_e32 v142, v142, v158
	;; [unrolled: 1-line block ×4, first 2 shown]
	v_fma_f32 v56, 0xbf75a155, v57, -v141
	v_add_f32_e32 v105, v52, v172
	v_add_f32_e32 v54, v52, v184
	v_fmac_f32_e32 v188, 0xbe11bafb, v55
	v_add_f32_e32 v52, v52, v128
	v_fmac_f32_e32 v195, 0xbf75a155, v55
	v_add_f32_e32 v66, v71, v66
	v_add_f32_e32 v71, v107, v106
	v_fmac_f32_e32 v175, 0x3f575c64, v55
	v_fma_f32 v107, 0xbe11bafb, v57, -v182
	v_mul_f32_e32 v166, 0xbf27a4f4, v62
	v_mul_f32_e32 v167, 0xbe11bafb, v60
	;; [unrolled: 1-line block ×4, first 2 shown]
	v_add_f32_e32 v144, v193, v192
	v_fma_f32 v154, 0x3ed4b147, v58, -v194
	v_mul_f32_e32 v132, 0xbf0a6770, v132
	v_add_f32_e32 v131, v142, v131
	v_add_f32_e32 v139, v139, v163
	;; [unrolled: 1-line block ×3, first 2 shown]
	v_fma_f32 v55, 0x3ed4b147, v59, -v143
	v_add_f32_e32 v54, v188, v54
	v_fmac_f32_e32 v187, 0x3f575c64, v58
	v_add_f32_e32 v52, v195, v52
	v_fmac_f32_e32 v194, 0x3ed4b147, v58
	v_fma_f32 v106, 0x3ed4b147, v62, -v173
	v_add_f32_e32 v65, v66, v65
	v_add_f32_e32 v66, v175, v105
	v_fmac_f32_e32 v177, 0xbf27a4f4, v58
	v_add_f32_e32 v70, v107, v70
	v_fma_f32 v105, 0x3f575c64, v59, -v181
	v_mul_f32_e32 v171, 0xbf75a155, v64
	v_add_f32_e32 v118, v122, v166
	v_mul_f32_e32 v174, 0x3f575c64, v63
	v_mul_f32_e32 v176, 0x3f575c64, v64
	v_fmamk_f32 v191, v62, 0x3f575c64, v145
	v_mul_f32_e32 v146, 0xbf4178ce, v146
	v_add_f32_e32 v144, v154, v144
	v_fma_f32 v154, 0x3f575c64, v60, -v132
	v_mul_f32_e32 v134, 0xbf4178ce, v134
	v_add_f32_e32 v139, v139, v131
	v_add_f32_e32 v138, v138, v168
	v_sub_f32_e32 v126, v167, v126
	v_add_f32_e32 v53, v55, v53
	v_fma_f32 v55, 0x3f575c64, v62, -v145
	v_add_f32_e32 v54, v187, v54
	v_fmac_f32_e32 v190, 0xbf75a155, v60
	v_add_f32_e32 v52, v194, v52
	v_fmac_f32_e32 v132, 0x3f575c64, v60
	v_add_f32_e32 v71, v106, v71
	v_fma_f32 v106, 0xbe11bafb, v64, -v178
	v_add_f32_e32 v107, v177, v66
	v_fmac_f32_e32 v180, 0x3ed4b147, v60
	v_add_f32_e32 v66, v65, v61
	v_add_f32_e32 v65, v105, v70
	v_fma_f32 v70, 0xbf75a155, v62, -v185
	v_add_f32_e32 v113, v118, v115
	v_add_f32_e32 v111, v120, v171
	;; [unrolled: 1-line block ×3, first 2 shown]
	v_fmamk_f32 v191, v64, 0xbf27a4f4, v146
	v_add_f32_e32 v142, v154, v144
	v_fma_f32 v144, 0xbf27a4f4, v63, -v134
	v_add_f32_e32 v137, v138, v139
	v_add_f32_e32 v138, v140, v176
	;; [unrolled: 1-line block ×3, first 2 shown]
	v_sub_f32_e32 v127, v174, v127
	v_add_f32_e32 v55, v55, v53
	v_fma_f32 v56, 0xbf27a4f4, v64, -v146
	v_add_f32_e32 v54, v190, v54
	v_fmac_f32_e32 v186, 0x3ed4b147, v63
	v_add_f32_e32 v57, v132, v52
	v_fmac_f32_e32 v134, 0xbf27a4f4, v63
	v_add_f32_e32 v61, v106, v71
	v_add_f32_e32 v71, v180, v107
	v_fmac_f32_e32 v183, 0xbe11bafb, v63
	v_add_f32_e32 v65, v70, v65
	v_fma_f32 v70, 0x3ed4b147, v64, -v189
	v_add_f32_e32 v69, v111, v113
	v_add_f32_e32 v131, v191, v130
	;; [unrolled: 1-line block ×6, first 2 shown]
	v_add_nc_u32_e32 v56, 0x400, v95
	v_add_f32_e32 v52, v186, v54
	v_add_f32_e32 v54, v134, v57
	v_add_nc_u32_e32 v57, 0x800, v95
	v_add_f32_e32 v60, v183, v71
	v_add_f32_e32 v53, v70, v65
	v_add_nc_u32_e32 v58, 0x1000, v95
	v_add_nc_u32_e32 v59, 0x1800, v95
	ds_write2_b64 v95, v[66:67], v[68:69] offset1:99
	ds_write2_b64 v56, v[116:117], v[130:131] offset0:70 offset1:169
	ds_write2_b64 v57, v[149:150], v[147:148] offset0:140 offset1:239
	;; [unrolled: 1-line block ×4, first 2 shown]
	ds_write_b64 v95, v[93:94] offset:7920
.LBB0_9:
	s_or_b32 exec_lo, exec_lo, s0
	v_lshlrev_b32_e32 v52, 3, v96
	s_waitcnt lgkmcnt(0)
	s_barrier
	buffer_gl0_inv
	v_add_nc_u32_e32 v70, 0x400, v95
	v_add_co_u32 v60, s0, s8, v52
	v_add_co_ci_u32_e64 v61, null, s9, 0, s0
	v_add_nc_u32_e32 v123, 0x1400, v95
	v_add_co_u32 v52, s0, 0x2000, v60
	v_add_co_ci_u32_e64 v53, s0, 0, v61, s0
	v_add_nc_u32_e32 v124, 0xc00, v95
	v_add_nc_u32_e32 v71, 0x800, v95
	;; [unrolled: 1-line block ×3, first 2 shown]
	global_load_dwordx2 v[56:57], v[52:53], off offset:520
	v_add_co_u32 v52, s0, 0x2208, v60
	v_add_co_ci_u32_e64 v53, s0, 0, v61, s0
	v_add_co_u32 v54, s0, 0x4000, v60
	v_add_co_ci_u32_e64 v55, s0, 0, v61, s0
	;; [unrolled: 2-line block ×3, first 2 shown]
	s_clause 0x1
	global_load_dwordx2 v[68:69], v[52:53], off offset:968
	global_load_dwordx2 v[107:108], v[54:55], off offset:72
	v_add_co_u32 v54, s0, 0x3800, v60
	v_add_co_ci_u32_e64 v55, s0, 0, v61, s0
	v_add_co_u32 v60, s0, 0x3000, v60
	v_add_co_ci_u32_e64 v61, s0, 0, v61, s0
	s_clause 0x5
	global_load_dwordx2 v[109:110], v[58:59], off offset:1376
	global_load_dwordx2 v[111:112], v[54:55], off offset:184
	;; [unrolled: 1-line block ×6, first 2 shown]
	ds_read2_b64 v[52:55], v95 offset1:121
	ds_read_b64 v[121:122], v95 offset:7744
	v_add_nc_u32_e32 v106, 0x1800, v95
	s_waitcnt vmcnt(8) lgkmcnt(1)
	v_mul_f32_e32 v59, v53, v57
	v_mul_f32_e32 v58, v52, v57
	v_fma_f32 v57, v52, v56, -v59
	v_fmac_f32_e32 v58, v53, v56
	ds_write_b64 v95, v[57:58]
	ds_read2_b64 v[56:59], v70 offset0:114 offset1:235
	ds_read2_b64 v[60:63], v123 offset0:86 offset1:207
	;; [unrolled: 1-line block ×3, first 2 shown]
	s_waitcnt vmcnt(7)
	v_mul_f32_e32 v52, v55, v69
	v_mul_f32_e32 v53, v54, v69
	s_waitcnt vmcnt(6) lgkmcnt(4)
	v_mul_f32_e32 v125, v122, v108
	v_mul_f32_e32 v69, v121, v108
	v_fma_f32 v52, v54, v68, -v52
	v_fmac_f32_e32 v53, v55, v68
	v_fma_f32 v68, v121, v107, -v125
	v_fmac_f32_e32 v69, v122, v107
	s_waitcnt vmcnt(5) lgkmcnt(2)
	v_mul_f32_e32 v54, v59, v110
	v_mul_f32_e32 v55, v58, v110
	s_waitcnt vmcnt(3) lgkmcnt(0)
	v_mul_f32_e32 v121, v65, v114
	v_mul_f32_e32 v110, v64, v114
	v_mul_f32_e32 v107, v61, v112
	v_mul_f32_e32 v108, v60, v112
	s_waitcnt vmcnt(1)
	v_mul_f32_e32 v122, v63, v118
	v_mul_f32_e32 v112, v62, v118
	s_waitcnt vmcnt(0)
	v_mul_f32_e32 v118, v57, v120
	v_mul_f32_e32 v114, v56, v120
	;; [unrolled: 1-line block ×4, first 2 shown]
	v_fma_f32 v54, v58, v109, -v54
	v_fmac_f32_e32 v55, v59, v109
	v_fma_f32 v109, v64, v113, -v121
	v_fmac_f32_e32 v110, v65, v113
	;; [unrolled: 2-line block ×6, first 2 shown]
	ds_write2_b64 v71, v[54:55], v[109:110] offset0:107 offset1:228
	ds_write2_b64 v95, v[52:53], v[113:114] offset0:121 offset1:242
	;; [unrolled: 1-line block ×4, first 2 shown]
	s_waitcnt lgkmcnt(0)
	s_barrier
	buffer_gl0_inv
	ds_read2_b64 v[60:63], v95 offset1:121
	ds_read2_b64 v[56:59], v70 offset0:114 offset1:235
	ds_read2_b64 v[52:55], v123 offset0:86 offset1:207
	;; [unrolled: 1-line block ×3, first 2 shown]
	ds_read_b64 v[107:108], v95 offset:7744
	s_waitcnt lgkmcnt(0)
	s_barrier
	buffer_gl0_inv
	v_add_f32_e32 v68, v60, v58
	v_add_f32_e32 v69, v58, v52
	v_sub_f32_e32 v109, v59, v53
	v_add_f32_e32 v110, v61, v59
	v_add_f32_e32 v59, v59, v53
	v_add_f32_e32 v112, v64, v54
	v_sub_f32_e32 v113, v65, v55
	v_add_f32_e32 v114, v63, v65
	v_add_f32_e32 v65, v65, v55
	v_add_f32_e32 v116, v66, v107
	v_sub_f32_e32 v117, v67, v108
	v_add_f32_e32 v118, v57, v67
	v_add_f32_e32 v67, v67, v108
	v_sub_f32_e32 v111, v58, v52
	v_add_f32_e32 v58, v62, v64
	v_sub_f32_e32 v115, v64, v54
	;; [unrolled: 2-line block ×3, first 2 shown]
	v_add_f32_e32 v52, v68, v52
	v_fma_f32 v68, -0.5, v69, v60
	v_fma_f32 v69, -0.5, v59, v61
	;; [unrolled: 1-line block ×3, first 2 shown]
	v_fmac_f32_e32 v63, -0.5, v65
	v_fma_f32 v56, -0.5, v116, v56
	v_fmac_f32_e32 v57, -0.5, v67
	v_add_f32_e32 v53, v110, v53
	v_add_f32_e32 v58, v58, v54
	;; [unrolled: 1-line block ×5, first 2 shown]
	v_fmamk_f32 v54, v109, 0xbf5db3d7, v68
	v_fmac_f32_e32 v68, 0x3f5db3d7, v109
	v_fmamk_f32 v55, v111, 0x3f5db3d7, v69
	v_fmac_f32_e32 v69, 0xbf5db3d7, v111
	v_fmamk_f32 v60, v113, 0xbf5db3d7, v62
	v_fmac_f32_e32 v62, 0x3f5db3d7, v113
	v_fmamk_f32 v61, v115, 0x3f5db3d7, v63
	v_fmac_f32_e32 v63, 0xbf5db3d7, v115
	v_fmamk_f32 v66, v117, 0xbf5db3d7, v56
	v_fmac_f32_e32 v56, 0x3f5db3d7, v117
	v_fmamk_f32 v67, v119, 0x3f5db3d7, v57
	v_fmac_f32_e32 v57, 0xbf5db3d7, v119
	ds_write2_b64 v101, v[52:53], v[54:55] offset1:1
	ds_write_b64 v101, v[68:69] offset:16
	ds_write2_b64 v100, v[58:59], v[60:61] offset1:1
	ds_write_b64 v100, v[62:63] offset:16
	;; [unrolled: 2-line block ×3, first 2 shown]
	s_waitcnt lgkmcnt(0)
	s_barrier
	buffer_gl0_inv
	s_and_saveexec_b32 s0, vcc_lo
	s_cbranch_execz .LBB0_11
; %bb.10:
	ds_read2_b64 v[56:59], v106 offset0:24 offset1:123
	ds_read2_b64 v[60:63], v71 offset0:140 offset1:239
	ds_read2_b64 v[68:71], v70 offset0:70 offset1:169
	ds_read2_b64 v[52:55], v95 offset1:99
	ds_read2_b64 v[64:67], v105 offset0:82 offset1:181
	ds_read_b64 v[93:94], v95 offset:7920
	s_waitcnt lgkmcnt(5)
	v_mov_b32_e32 v91, v58
	v_mov_b32_e32 v92, v59
	s_waitcnt lgkmcnt(3)
	v_mov_b32_e32 v58, v70
	v_mov_b32_e32 v59, v71
.LBB0_11:
	s_or_b32 exec_lo, exec_lo, s0
	s_waitcnt lgkmcnt(2)
	v_mul_f32_e32 v70, v17, v55
	v_mul_f32_e32 v71, v17, v54
	;; [unrolled: 1-line block ×4, first 2 shown]
	s_waitcnt lgkmcnt(0)
	v_fmac_f32_e32 v70, v16, v54
	v_fma_f32 v19, v16, v55, -v71
	v_mul_f32_e32 v16, v13, v59
	v_mul_f32_e32 v54, v13, v58
	v_fmac_f32_e32 v17, v18, v68
	v_mul_f32_e32 v13, v15, v61
	v_fma_f32 v68, v18, v69, -v99
	v_fmac_f32_e32 v16, v12, v58
	v_mul_f32_e32 v18, v15, v60
	v_fma_f32 v15, v12, v59, -v54
	v_mul_f32_e32 v12, v5, v63
	v_mul_f32_e32 v5, v5, v62
	v_fmac_f32_e32 v13, v14, v60
	v_fma_f32 v18, v14, v61, -v18
	v_mul_f32_e32 v14, v7, v65
	v_mul_f32_e32 v7, v7, v64
	v_fma_f32 v58, v4, v63, -v5
	v_mul_f32_e32 v5, v11, v93
	v_fmac_f32_e32 v12, v4, v62
	v_mul_f32_e32 v59, v1, v67
	v_fma_f32 v63, v6, v65, -v7
	v_mul_f32_e32 v4, v11, v94
	v_fma_f32 v7, v10, v94, -v5
	v_mul_f32_e32 v1, v1, v66
	v_fmac_f32_e32 v14, v6, v64
	v_fmac_f32_e32 v59, v0, v66
	;; [unrolled: 1-line block ×3, first 2 shown]
	v_sub_f32_e32 v100, v19, v7
	v_fma_f32 v64, v0, v67, -v1
	v_mul_f32_e32 v1, v9, v91
	v_mul_f32_e32 v5, v3, v56
	v_add_f32_e32 v0, v4, v70
	v_mul_f32_e32 v66, 0xbf0a6770, v100
	v_add_f32_e32 v111, v7, v19
	v_mul_f32_e32 v10, v9, v92
	v_fma_f32 v60, v8, v92, -v1
	v_mul_f32_e32 v11, v3, v57
	v_fma_f32 v1, 0x3f575c64, v0, -v66
	v_sub_f32_e32 v3, v70, v4
	v_mul_f32_e32 v71, 0x3f575c64, v111
	v_fma_f32 v65, v2, v57, -v5
	v_fmac_f32_e32 v10, v8, v91
	v_sub_f32_e32 v108, v68, v60
	v_add_f32_e32 v116, v60, v68
	v_fmac_f32_e32 v11, v2, v56
	v_add_f32_e32 v5, v52, v1
	v_fmamk_f32 v6, v3, 0xbf0a6770, v71
	v_mul_f32_e32 v99, 0xbf68dda4, v100
	v_add_f32_e32 v1, v10, v17
	v_mul_f32_e32 v67, 0xbf68dda4, v108
	v_sub_f32_e32 v2, v17, v10
	v_mul_f32_e32 v69, 0x3ed4b147, v116
	v_add_f32_e32 v121, v65, v15
	v_mul_f32_e32 v106, 0x3ed4b147, v111
	v_fma_f32 v8, 0x3ed4b147, v0, -v99
	v_fma_f32 v54, 0x3ed4b147, v1, -v67
	v_add_f32_e32 v55, v53, v6
	v_fmamk_f32 v56, v2, 0xbf68dda4, v69
	v_sub_f32_e32 v113, v15, v65
	v_mul_f32_e32 v107, 0xbf4178ce, v108
	v_sub_f32_e32 v6, v16, v11
	v_mul_f32_e32 v92, 0xbe11bafb, v121
	v_fmamk_f32 v9, v3, 0xbf68dda4, v106
	v_add_f32_e32 v8, v52, v8
	v_add_f32_e32 v54, v54, v5
	v_mul_f32_e32 v109, 0xbf27a4f4, v116
	v_add_f32_e32 v5, v11, v16
	v_mul_f32_e32 v91, 0xbf7d64f0, v113
	v_fma_f32 v57, 0xbf27a4f4, v1, -v107
	v_add_f32_e32 v55, v56, v55
	v_fmamk_f32 v56, v6, 0xbf7d64f0, v92
	v_mul_f32_e32 v110, 0x3e903f40, v113
	v_sub_f32_e32 v114, v18, v64
	v_add_f32_e32 v9, v53, v9
	v_fmamk_f32 v61, v2, 0xbf4178ce, v109
	v_fma_f32 v62, 0xbe11bafb, v5, -v91
	v_add_f32_e32 v57, v57, v8
	v_add_f32_e32 v55, v56, v55
	v_mul_f32_e32 v112, 0xbf75a155, v121
	v_add_f32_e32 v122, v64, v18
	v_fma_f32 v56, 0xbf75a155, v5, -v110
	v_add_f32_e32 v8, v59, v13
	v_mul_f32_e32 v93, 0xbf4178ce, v114
	v_mul_f32_e32 v115, 0x3f7d64f0, v114
	v_add_f32_e32 v61, v61, v9
	v_add_f32_e32 v54, v62, v54
	v_sub_f32_e32 v9, v13, v59
	v_mul_f32_e32 v94, 0xbf27a4f4, v122
	v_fmamk_f32 v62, v6, 0x3e903f40, v112
	v_fma_f32 v101, 0xbf27a4f4, v8, -v93
	v_add_f32_e32 v56, v56, v57
	v_fma_f32 v105, 0xbe11bafb, v8, -v115
	v_mul_f32_e32 v117, 0xbe11bafb, v122
	v_sub_f32_e32 v118, v58, v63
	v_add_f32_e32 v123, v63, v58
	v_fmamk_f32 v57, v9, 0xbf4178ce, v94
	v_add_f32_e32 v124, v62, v61
	v_add_f32_e32 v54, v101, v54
	;; [unrolled: 1-line block ×3, first 2 shown]
	v_fmamk_f32 v56, v9, 0x3f7d64f0, v117
	v_add_f32_e32 v61, v14, v12
	v_sub_f32_e32 v62, v12, v14
	v_mul_f32_e32 v101, 0xbe903f40, v118
	v_mul_f32_e32 v105, 0xbf75a155, v123
	;; [unrolled: 1-line block ×4, first 2 shown]
	v_add_f32_e32 v55, v57, v55
	v_add_f32_e32 v124, v56, v124
	v_fma_f32 v56, 0xbf75a155, v61, -v101
	v_fmamk_f32 v57, v62, 0xbe903f40, v105
	v_fma_f32 v126, 0x3f575c64, v61, -v119
	v_fmamk_f32 v127, v62, 0x3f0a6770, v120
	s_barrier
	v_add_f32_e32 v56, v56, v54
	v_add_f32_e32 v57, v57, v55
	;; [unrolled: 1-line block ×4, first 2 shown]
	buffer_gl0_inv
	s_and_saveexec_b32 s0, vcc_lo
	s_cbranch_execz .LBB0_13
; %bb.12:
	v_mul_f32_e32 v135, 0xbf75a155, v111
	v_mul_f32_e32 v140, 0x3f575c64, v116
	;; [unrolled: 1-line block ×3, first 2 shown]
	v_add_f32_e32 v19, v19, v53
	v_mul_f32_e32 v148, 0x3ed4b147, v122
	v_fmamk_f32 v124, v3, 0x3e903f40, v135
	v_fmamk_f32 v125, v2, 0xbf0a6770, v140
	v_mul_f32_e32 v151, 0xbe903f40, v100
	v_mul_f32_e32 v128, 0x3f575c64, v0
	v_add_f32_e32 v19, v68, v19
	v_add_f32_e32 v124, v53, v124
	;; [unrolled: 1-line block ×3, first 2 shown]
	v_mul_f32_e32 v152, 0xbe11bafb, v123
	v_fmamk_f32 v126, v0, 0xbf75a155, v151
	v_mul_f32_e32 v154, 0x3f0a6770, v108
	v_add_f32_e32 v124, v125, v124
	v_fmamk_f32 v125, v6, 0x3f4178ce, v144
	v_mul_f32_e32 v129, 0xbf0a6770, v3
	v_mul_f32_e32 v132, 0x3ed4b147, v1
	v_add_f32_e32 v66, v128, v66
	v_add_f32_e32 v15, v15, v19
	;; [unrolled: 1-line block ×3, first 2 shown]
	v_fmamk_f32 v125, v9, 0xbf68dda4, v148
	v_add_f32_e32 v17, v17, v68
	v_mul_f32_e32 v155, 0xbf27a4f4, v111
	v_add_f32_e32 v126, v52, v126
	v_fmamk_f32 v127, v1, 0x3f575c64, v154
	v_add_f32_e32 v124, v125, v124
	v_fmamk_f32 v125, v62, 0x3f7d64f0, v152
	v_mul_f32_e32 v156, 0xbf4178ce, v113
	v_mul_f32_e32 v133, 0xbf68dda4, v2
	;; [unrolled: 1-line block ×3, first 2 shown]
	v_sub_f32_e32 v71, v71, v129
	v_add_f32_e32 v66, v52, v66
	v_add_f32_e32 v67, v132, v67
	;; [unrolled: 1-line block ×5, first 2 shown]
	v_fmamk_f32 v124, v3, 0x3f4178ce, v155
	v_mul_f32_e32 v157, 0xbe11bafb, v116
	v_add_f32_e32 v126, v127, v126
	v_fmamk_f32 v127, v5, 0xbf27a4f4, v156
	v_mul_f32_e32 v158, 0x3f68dda4, v114
	v_mul_f32_e32 v138, 0xbf7d64f0, v6
	;; [unrolled: 1-line block ×3, first 2 shown]
	v_add_f32_e32 v71, v53, v71
	v_sub_f32_e32 v69, v69, v133
	v_add_f32_e32 v66, v67, v66
	v_add_f32_e32 v17, v137, v91
	;; [unrolled: 1-line block ×5, first 2 shown]
	v_fmamk_f32 v159, v2, 0xbf7d64f0, v157
	v_mul_f32_e32 v160, 0x3f575c64, v121
	v_add_f32_e32 v126, v127, v126
	v_fmamk_f32 v127, v8, 0x3ed4b147, v158
	v_mul_f32_e32 v161, 0xbf7d64f0, v118
	v_mul_f32_e32 v143, 0xbf4178ce, v9
	;; [unrolled: 1-line block ×3, first 2 shown]
	v_add_f32_e32 v19, v69, v71
	v_sub_f32_e32 v68, v92, v138
	v_add_f32_e32 v16, v17, v66
	v_add_f32_e32 v17, v142, v93
	;; [unrolled: 1-line block ×5, first 2 shown]
	v_fmamk_f32 v159, v6, 0x3f0a6770, v160
	v_mul_f32_e32 v162, 0xbf75a155, v122
	v_add_f32_e32 v126, v127, v126
	v_fmamk_f32 v127, v61, 0xbe11bafb, v161
	v_mul_f32_e32 v163, 0xbf4178ce, v100
	v_mul_f32_e32 v149, 0xbe903f40, v62
	v_add_f32_e32 v18, v68, v19
	v_sub_f32_e32 v19, v94, v143
	v_add_f32_e32 v16, v17, v16
	v_add_f32_e32 v17, v147, v101
	;; [unrolled: 1-line block ×5, first 2 shown]
	v_fmamk_f32 v164, v9, 0x3e903f40, v162
	v_mul_f32_e32 v165, 0x3ed4b147, v123
	v_add_f32_e32 v124, v127, v126
	v_fmamk_f32 v126, v0, 0xbf27a4f4, v163
	v_mul_f32_e32 v166, 0x3f7d64f0, v108
	v_add_f32_e32 v18, v19, v18
	v_sub_f32_e32 v13, v105, v149
	v_add_f32_e32 v12, v17, v16
	v_add_f32_e32 v15, v65, v15
	;; [unrolled: 1-line block ×3, first 2 shown]
	v_fma_f32 v16, 0xbf75a155, v0, -v151
	v_add_f32_e32 v127, v164, v159
	v_fmamk_f32 v159, v62, 0xbf68dda4, v165
	v_mul_f32_e32 v111, 0xbe11bafb, v111
	v_add_f32_e32 v126, v52, v126
	v_fmamk_f32 v164, v1, 0xbe11bafb, v166
	v_mul_f32_e32 v167, 0xbf0a6770, v113
	v_add_f32_e32 v13, v13, v18
	v_fmac_f32_e32 v135, 0xbe903f40, v3
	v_add_f32_e32 v15, v60, v15
	v_add_f32_e32 v14, v11, v14
	v_add_f32_e32 v16, v52, v16
	v_fma_f32 v18, 0x3f575c64, v1, -v154
	v_add_f32_e32 v127, v159, v127
	v_fmamk_f32 v159, v3, 0x3f7d64f0, v111
	v_mul_f32_e32 v116, 0xbf75a155, v116
	v_add_f32_e32 v126, v164, v126
	v_fmamk_f32 v164, v5, 0x3f575c64, v167
	v_mul_f32_e32 v168, 0xbe903f40, v114
	v_add_f32_e32 v17, v53, v135
	v_fmac_f32_e32 v140, 0x3f0a6770, v2
	v_add_f32_e32 v11, v7, v15
	v_add_f32_e32 v7, v10, v14
	;; [unrolled: 1-line block ×3, first 2 shown]
	v_fma_f32 v15, 0xbf27a4f4, v5, -v156
	v_add_f32_e32 v159, v53, v159
	v_fmamk_f32 v169, v2, 0xbe903f40, v116
	v_mul_f32_e32 v121, 0x3ed4b147, v121
	v_add_f32_e32 v126, v164, v126
	v_fmamk_f32 v164, v8, 0xbf75a155, v168
	v_add_f32_e32 v17, v140, v17
	v_fmac_f32_e32 v144, 0xbf4178ce, v6
	v_add_f32_e32 v10, v4, v7
	v_add_f32_e32 v4, v15, v14
	v_fma_f32 v7, 0x3ed4b147, v8, -v158
	v_mul_f32_e32 v130, 0x3ed4b147, v0
	v_mul_f32_e32 v131, 0xbf68dda4, v3
	;; [unrolled: 1-line block ×3, first 2 shown]
	v_add_f32_e32 v159, v169, v159
	v_fmamk_f32 v169, v6, 0xbf68dda4, v121
	v_mul_f32_e32 v122, 0x3f575c64, v122
	v_add_f32_e32 v126, v164, v126
	v_mul_f32_e32 v164, 0xbf7d64f0, v100
	v_add_f32_e32 v16, v144, v17
	v_fmac_f32_e32 v148, 0x3f68dda4, v9
	v_fmac_f32_e32 v155, 0xbf4178ce, v3
	v_add_f32_e32 v4, v7, v4
	v_fma_f32 v7, 0xbf27a4f4, v0, -v163
	v_mul_f32_e32 v134, 0xbf27a4f4, v1
	v_mul_f32_e32 v136, 0xbf4178ce, v2
	v_fmamk_f32 v100, v61, 0x3ed4b147, v170
	v_add_f32_e32 v159, v169, v159
	v_fmamk_f32 v169, v9, 0x3f0a6770, v122
	v_fmamk_f32 v171, v0, 0xbe11bafb, v164
	v_mul_f32_e32 v108, 0x3e903f40, v108
	v_sub_f32_e32 v106, v106, v131
	v_add_f32_e32 v99, v130, v99
	v_add_f32_e32 v14, v148, v16
	v_add_f32_e32 v15, v53, v155
	v_fmac_f32_e32 v157, 0x3f7d64f0, v2
	v_fmac_f32_e32 v152, 0xbf7d64f0, v62
	v_fma_f32 v16, 0xbe11bafb, v61, -v161
	v_add_f32_e32 v7, v52, v7
	v_fma_f32 v18, 0xbe11bafb, v1, -v166
	v_fmac_f32_e32 v111, 0xbf7d64f0, v3
	v_fma_f32 v0, 0xbe11bafb, v0, -v164
	v_mul_f32_e32 v139, 0xbf75a155, v5
	v_mul_f32_e32 v141, 0x3e903f40, v6
	v_add_f32_e32 v126, v100, v126
	v_add_f32_e32 v100, v169, v159
	;; [unrolled: 1-line block ×3, first 2 shown]
	v_fmamk_f32 v171, v1, 0xbf75a155, v108
	v_mul_f32_e32 v113, 0x3f68dda4, v113
	v_add_f32_e32 v106, v53, v106
	v_sub_f32_e32 v109, v109, v136
	v_add_f32_e32 v99, v52, v99
	v_add_f32_e32 v107, v134, v107
	;; [unrolled: 1-line block ×6, first 2 shown]
	v_fma_f32 v7, 0x3f575c64, v5, -v167
	v_add_f32_e32 v16, v53, v111
	v_fmac_f32_e32 v116, 0x3e903f40, v2
	v_add_f32_e32 v0, v52, v0
	v_fma_f32 v1, 0xbf75a155, v1, -v108
	v_mul_f32_e32 v145, 0xbe11bafb, v8
	v_mul_f32_e32 v146, 0x3f7d64f0, v9
	v_add_f32_e32 v130, v171, v169
	v_fmamk_f32 v131, v5, 0x3ed4b147, v113
	v_mul_f32_e32 v114, 0xbf0a6770, v114
	v_add_f32_e32 v106, v109, v106
	v_sub_f32_e32 v109, v112, v141
	v_add_f32_e32 v99, v107, v99
	v_add_f32_e32 v107, v139, v110
	v_fmac_f32_e32 v160, 0xbf0a6770, v6
	v_add_f32_e32 v2, v7, v3
	v_fma_f32 v3, 0xbf75a155, v8, -v168
	v_add_f32_e32 v7, v116, v16
	v_fmac_f32_e32 v121, 0x3f68dda4, v6
	v_add_f32_e32 v0, v1, v0
	v_fma_f32 v1, 0x3ed4b147, v5, -v113
	v_mov_b32_e32 v5, 33
	v_mul_f32_e32 v150, 0x3f575c64, v61
	v_mul_f32_e32 v153, 0x3f0a6770, v62
	;; [unrolled: 1-line block ×3, first 2 shown]
	v_add_f32_e32 v130, v131, v130
	v_fmamk_f32 v110, v8, 0x3f575c64, v114
	v_mul_f32_e32 v112, 0xbf4178ce, v118
	v_add_f32_e32 v106, v109, v106
	v_sub_f32_e32 v109, v117, v146
	v_add_f32_e32 v99, v107, v99
	v_add_f32_e32 v107, v145, v115
	;; [unrolled: 1-line block ×3, first 2 shown]
	v_fmac_f32_e32 v162, 0xbe903f40, v9
	v_add_f32_e32 v2, v3, v2
	v_add_f32_e32 v3, v121, v7
	v_fmac_f32_e32 v122, 0xbf0a6770, v9
	v_add_f32_e32 v0, v1, v0
	v_fma_f32 v1, 0x3f575c64, v8, -v114
	v_mul_u32_u24_sdwa v5, v98, v5 dst_sel:DWORD dst_unused:UNUSED_PAD src0_sel:WORD_0 src1_sel:DWORD
	v_fmamk_f32 v159, v62, 0x3f4178ce, v123
	v_add_f32_e32 v110, v110, v130
	v_fmamk_f32 v115, v61, 0xbf27a4f4, v112
	v_add_f32_e32 v106, v109, v106
	v_sub_f32_e32 v109, v120, v153
	v_add_f32_e32 v117, v107, v99
	v_add_f32_e32 v118, v150, v119
	;; [unrolled: 1-line block ×3, first 2 shown]
	v_fmac_f32_e32 v165, 0x3f68dda4, v62
	v_fma_f32 v6, 0x3ed4b147, v61, -v170
	v_add_f32_e32 v3, v122, v3
	v_fmac_f32_e32 v123, 0xbf4178ce, v62
	v_add_f32_e32 v7, v1, v0
	v_fma_f32 v8, 0xbf27a4f4, v61, -v112
	v_add_lshl_u32 v5, v5, v97, 3
	v_add_f32_e32 v100, v159, v100
	v_add_f32_e32 v99, v115, v110
	;; [unrolled: 1-line block ×8, first 2 shown]
	ds_write2_b64 v5, v[10:11], v[12:13] offset1:3
	ds_write2_b64 v5, v[106:107], v[99:100] offset0:6 offset1:9
	ds_write2_b64 v5, v[126:127], v[124:125] offset0:12 offset1:15
	;; [unrolled: 1-line block ×4, first 2 shown]
	ds_write_b64 v5, v[56:57] offset:240
.LBB0_13:
	s_or_b32 exec_lo, exec_lo, s0
	v_add_nc_u32_e32 v52, 0x400, v95
	v_add_nc_u32_e32 v0, 0x1400, v95
	;; [unrolled: 1-line block ×3, first 2 shown]
	s_waitcnt lgkmcnt(0)
	s_barrier
	buffer_gl0_inv
	ds_read_b64 v[16:17], v95 offset:7744
	ds_read2_b64 v[8:11], v52 offset0:114 offset1:235
	ds_read2_b64 v[0:3], v0 offset0:86 offset1:207
	;; [unrolled: 1-line block ×3, first 2 shown]
	ds_read2_b64 v[4:7], v95 offset1:121
	s_waitcnt lgkmcnt(0)
	s_barrier
	buffer_gl0_inv
	v_mul_f32_e32 v53, v35, v1
	v_mul_f32_e32 v18, v31, v17
	;; [unrolled: 1-line block ×8, first 2 shown]
	v_fmac_f32_e32 v31, v32, v10
	v_fma_f32 v10, v32, v11, -v33
	v_fmac_f32_e32 v53, v34, v0
	v_fma_f32 v1, v34, v1, -v35
	v_mul_f32_e32 v59, v27, v3
	v_mul_f32_e32 v27, v27, v2
	v_fma_f32 v11, v24, v13, -v25
	v_add_f32_e32 v0, v31, v53
	v_add_f32_e32 v13, v10, v1
	v_fmac_f32_e32 v18, v30, v16
	v_fmac_f32_e32 v58, v24, v12
	;; [unrolled: 1-line block ×3, first 2 shown]
	v_fma_f32 v16, v26, v3, -v27
	v_add_f32_e32 v2, v4, v31
	v_sub_f32_e32 v3, v10, v1
	v_fma_f32 v12, -0.5, v0, v4
	v_add_f32_e32 v4, v5, v10
	v_sub_f32_e32 v10, v31, v53
	v_fma_f32 v13, -0.5, v13, v5
	v_mul_f32_e32 v60, v29, v15
	v_mul_f32_e32 v29, v29, v14
	v_add_f32_e32 v0, v2, v53
	v_fmamk_f32 v2, v3, 0xbf5db3d7, v12
	v_fmac_f32_e32 v12, 0x3f5db3d7, v3
	v_add_f32_e32 v1, v4, v1
	v_add_f32_e32 v4, v58, v59
	v_fmamk_f32 v3, v10, 0x3f5db3d7, v13
	v_add_f32_e32 v5, v6, v58
	v_fmac_f32_e32 v13, 0xbf5db3d7, v10
	v_add_f32_e32 v10, v11, v16
	v_fma_f32 v17, v30, v17, -v19
	v_fmac_f32_e32 v60, v28, v14
	v_fma_f32 v19, v28, v15, -v29
	v_fma_f32 v6, -0.5, v4, v6
	v_sub_f32_e32 v15, v11, v16
	v_add_f32_e32 v14, v5, v59
	v_add_f32_e32 v5, v7, v11
	v_fmac_f32_e32 v7, -0.5, v10
	v_sub_f32_e32 v10, v58, v59
	v_fmamk_f32 v4, v15, 0xbf5db3d7, v6
	v_fmac_f32_e32 v6, 0x3f5db3d7, v15
	v_add_f32_e32 v15, v5, v16
	v_add_f32_e32 v11, v60, v18
	v_fmamk_f32 v5, v10, 0x3f5db3d7, v7
	v_fmac_f32_e32 v7, 0xbf5db3d7, v10
	v_add_f32_e32 v10, v19, v17
	v_add_f32_e32 v16, v8, v60
	v_fma_f32 v8, -0.5, v11, v8
	v_sub_f32_e32 v11, v19, v17
	v_add_f32_e32 v19, v9, v19
	v_fmac_f32_e32 v9, -0.5, v10
	v_sub_f32_e32 v10, v60, v18
	v_add_f32_e32 v16, v16, v18
	v_fmamk_f32 v18, v11, 0xbf5db3d7, v8
	v_fmac_f32_e32 v8, 0x3f5db3d7, v11
	v_add_f32_e32 v17, v19, v17
	v_fmamk_f32 v19, v10, 0x3f5db3d7, v9
	v_fmac_f32_e32 v9, 0xbf5db3d7, v10
	ds_write2_b64 v104, v[0:1], v[2:3] offset1:33
	ds_write_b64 v104, v[12:13] offset:528
	ds_write2_b64 v103, v[14:15], v[4:5] offset1:33
	ds_write_b64 v103, v[6:7] offset:528
	;; [unrolled: 2-line block ×3, first 2 shown]
	s_waitcnt lgkmcnt(0)
	s_barrier
	buffer_gl0_inv
	s_and_saveexec_b32 s0, vcc_lo
	s_cbranch_execz .LBB0_15
; %bb.14:
	v_add_nc_u32_e32 v0, 0x1800, v95
	v_add_nc_u32_e32 v4, 0x800, v95
	;; [unrolled: 1-line block ×3, first 2 shown]
	ds_read2_b64 v[8:11], v0 offset0:24 offset1:123
	ds_read2_b64 v[0:3], v95 offset1:99
	ds_read2_b64 v[12:15], v52 offset0:70 offset1:169
	ds_read_b64 v[56:57], v95 offset:7920
	ds_read2_b64 v[4:7], v4 offset0:140 offset1:239
	ds_read2_b64 v[16:19], v16 offset0:82 offset1:181
	s_waitcnt lgkmcnt(5)
	v_mov_b32_e32 v54, v10
	v_mov_b32_e32 v55, v11
.LBB0_15:
	s_or_b32 exec_lo, exec_lo, s0
	s_and_saveexec_b32 s0, vcc_lo
	s_cbranch_execz .LBB0_17
; %bb.16:
	s_waitcnt lgkmcnt(2)
	v_mul_f32_e32 v10, v51, v56
	v_mul_f32_e32 v11, v45, v2
	;; [unrolled: 1-line block ×5, first 2 shown]
	v_fma_f32 v26, v50, v57, -v10
	v_mul_f32_e32 v10, v47, v12
	v_fma_f32 v11, v44, v3, -v11
	v_mul_f32_e32 v3, v49, v54
	v_fmac_f32_e32 v24, v44, v2
	v_fmac_f32_e32 v25, v50, v56
	v_fma_f32 v29, v46, v13, -v10
	v_mul_f32_e32 v13, v47, v13
	v_add_f32_e32 v27, v26, v11
	v_fma_f32 v28, v48, v55, -v3
	v_mul_f32_e32 v10, v39, v8
	v_sub_f32_e32 v32, v24, v25
	v_fmac_f32_e32 v13, v46, v12
	v_mul_f32_e32 v12, v41, v14
	v_mul_f32_e32 v31, 0xbf75a155, v27
	v_add_f32_e32 v33, v28, v29
	v_fmac_f32_e32 v30, v48, v54
	v_fma_f32 v44, v38, v9, -v10
	v_fma_f32 v12, v40, v15, -v12
	v_mul_f32_e32 v15, v41, v15
	v_mul_f32_e32 v39, v39, v9
	s_waitcnt lgkmcnt(0)
	v_mul_f32_e32 v9, v37, v18
	v_mul_f32_e32 v10, v43, v4
	v_fmamk_f32 v3, v32, 0x3e903f40, v31
	v_fmac_f32_e32 v15, v40, v14
	v_mul_f32_e32 v40, v43, v5
	v_mul_f32_e32 v34, 0x3f575c64, v33
	v_sub_f32_e32 v2, v13, v30
	v_add_f32_e32 v41, v44, v12
	v_fmac_f32_e32 v39, v38, v8
	v_fma_f32 v14, v36, v19, -v9
	v_fma_f32 v38, v42, v5, -v10
	v_mul_f32_e32 v19, v37, v19
	v_fmac_f32_e32 v40, v42, v4
	v_mul_f32_e32 v5, v23, v16
	v_mul_f32_e32 v8, v21, v6
	v_sub_f32_e32 v42, v11, v26
	v_add_f32_e32 v3, v1, v3
	v_fmamk_f32 v35, v2, 0xbf0a6770, v34
	v_mul_f32_e32 v37, 0xbf27a4f4, v41
	v_sub_f32_e32 v43, v15, v39
	v_add_f32_e32 v9, v14, v38
	v_fmac_f32_e32 v19, v36, v18
	v_fma_f32 v36, v22, v17, -v5
	v_fma_f32 v45, v20, v7, -v8
	v_mul_f32_e32 v21, v21, v7
	v_mul_f32_e32 v17, v23, v17
	v_add_f32_e32 v23, v25, v24
	v_mul_f32_e32 v46, 0xbe903f40, v42
	v_sub_f32_e32 v48, v29, v28
	v_add_f32_e32 v3, v35, v3
	v_fmamk_f32 v4, v43, 0x3f4178ce, v37
	v_mul_f32_e32 v18, 0x3ed4b147, v9
	v_sub_f32_e32 v35, v40, v19
	v_add_f32_e32 v47, v36, v45
	v_fmac_f32_e32 v21, v20, v6
	v_fmac_f32_e32 v17, v22, v16
	v_fmamk_f32 v5, v23, 0xbf75a155, v46
	v_add_f32_e32 v22, v30, v13
	v_mul_f32_e32 v16, 0x3f0a6770, v48
	v_sub_f32_e32 v49, v12, v44
	v_add_f32_e32 v3, v4, v3
	v_fmamk_f32 v4, v35, 0xbf68dda4, v18
	v_mul_f32_e32 v20, 0xbe11bafb, v47
	v_sub_f32_e32 v50, v21, v17
	v_add_f32_e32 v5, v0, v5
	v_fmamk_f32 v6, v22, 0x3f575c64, v16
	v_add_f32_e32 v51, v39, v15
	v_mul_f32_e32 v52, 0xbf4178ce, v49
	v_add_f32_e32 v3, v4, v3
	v_fmamk_f32 v4, v50, 0x3f7d64f0, v20
	v_add_f32_e32 v5, v6, v5
	v_mul_f32_e32 v53, 0xbf27a4f4, v27
	v_fmamk_f32 v6, v51, 0xbf27a4f4, v52
	v_sub_f32_e32 v54, v38, v14
	v_add_f32_e32 v4, v4, v3
	v_mul_f32_e32 v55, 0xbe11bafb, v33
	v_add_f32_e32 v56, v19, v40
	v_add_f32_e32 v3, v6, v5
	v_fmamk_f32 v5, v32, 0x3f4178ce, v53
	v_mul_f32_e32 v57, 0x3f68dda4, v54
	v_sub_f32_e32 v58, v45, v36
	v_fmamk_f32 v6, v2, 0xbf7d64f0, v55
	v_mul_f32_e32 v59, 0x3f575c64, v41
	v_add_f32_e32 v5, v1, v5
	v_fmamk_f32 v7, v56, 0x3ed4b147, v57
	v_add_f32_e32 v60, v17, v21
	v_mul_f32_e32 v61, 0xbf7d64f0, v58
	v_mul_f32_e32 v62, 0xbf75a155, v9
	v_add_f32_e32 v5, v6, v5
	v_fmamk_f32 v6, v43, 0x3f0a6770, v59
	v_add_f32_e32 v3, v7, v3
	v_fmamk_f32 v7, v60, 0xbe11bafb, v61
	v_mul_f32_e32 v63, 0xbf4178ce, v42
	v_mul_f32_e32 v64, 0x3ed4b147, v47
	v_add_f32_e32 v5, v6, v5
	v_fmamk_f32 v6, v35, 0x3e903f40, v62
	v_add_f32_e32 v3, v7, v3
	v_fmamk_f32 v7, v23, 0xbf27a4f4, v63
	;; [unrolled: 6-line block ×4, first 2 shown]
	v_mul_f32_e32 v69, 0xbe903f40, v54
	v_fmamk_f32 v10, v2, 0xbe903f40, v68
	v_add_f32_e32 v5, v1, v5
	v_mul_f32_e32 v70, 0x3ed4b147, v41
	v_add_f32_e32 v7, v8, v7
	v_fmamk_f32 v8, v56, 0xbf75a155, v69
	v_mul_f32_e32 v71, 0x3f68dda4, v58
	v_add_f32_e32 v5, v10, v5
	v_fmamk_f32 v10, v43, 0xbf68dda4, v70
	;; [unrolled: 3-line block ×19, first 2 shown]
	v_mul_f32_e32 v111, 0x3f7d64f0, v54
	v_add_f32_e32 v11, v11, v1
	v_add_f32_e32 v102, v1, v102
	v_fmamk_f32 v112, v2, 0x3f68dda4, v33
	v_mul_f32_e32 v41, 0xbe11bafb, v41
	v_add_f32_e32 v98, v109, v98
	v_fmamk_f32 v109, v56, 0xbe11bafb, v111
	v_mul_f32_e32 v113, 0x3f0a6770, v58
	v_add_f32_e32 v11, v29, v11
	v_add_f32_e32 v24, v0, v24
	;; [unrolled: 1-line block ×3, first 2 shown]
	v_fmamk_f32 v112, v43, 0x3f7d64f0, v41
	v_mul_f32_e32 v114, 0xbf27a4f4, v9
	v_add_f32_e32 v9, v109, v98
	v_fmamk_f32 v98, v60, 0x3f575c64, v113
	v_mul_f32_e32 v42, 0xbf0a6770, v42
	v_add_f32_e32 v11, v12, v11
	v_add_f32_e32 v12, v13, v24
	;; [unrolled: 1-line block ×3, first 2 shown]
	v_fmamk_f32 v109, v35, 0x3f4178ce, v114
	v_add_f32_e32 v9, v98, v9
	v_fmamk_f32 v98, v23, 0x3f575c64, v42
	v_mul_f32_e32 v48, 0xbf68dda4, v48
	v_mul_f32_e32 v24, 0xbf75a155, v47
	v_add_f32_e32 v11, v38, v11
	v_add_f32_e32 v12, v15, v12
	;; [unrolled: 1-line block ×4, first 2 shown]
	v_fmamk_f32 v47, v22, 0x3ed4b147, v48
	v_mul_f32_e32 v38, 0xbf7d64f0, v49
	v_fmamk_f32 v15, v50, 0x3e903f40, v24
	v_add_f32_e32 v11, v45, v11
	v_add_f32_e32 v40, v40, v12
	;; [unrolled: 1-line block ×3, first 2 shown]
	v_fmamk_f32 v45, v51, 0xbe11bafb, v38
	v_mul_f32_e32 v47, 0xbf4178ce, v54
	v_add_f32_e32 v12, v15, v29
	v_add_f32_e32 v11, v36, v11
	;; [unrolled: 1-line block ×4, first 2 shown]
	v_fmamk_f32 v21, v56, 0xbf27a4f4, v47
	v_mul_f32_e32 v29, 0xbe903f40, v58
	v_add_f32_e32 v11, v14, v11
	v_add_f32_e32 v14, v17, v15
	v_fmac_f32_e32 v31, 0xbe903f40, v32
	v_add_f32_e32 v13, v21, v13
	v_fmamk_f32 v15, v60, 0xbf75a155, v29
	v_add_f32_e32 v17, v44, v11
	v_add_f32_e32 v14, v19, v14
	v_add_f32_e32 v19, v1, v31
	v_fmac_f32_e32 v34, 0x3f0a6770, v2
	v_add_f32_e32 v11, v15, v13
	v_fma_f32 v13, 0xbf75a155, v23, -v46
	v_add_f32_e32 v15, v28, v17
	v_add_f32_e32 v17, v39, v14
	v_add_f32_e32 v19, v34, v19
	v_fmac_f32_e32 v37, 0xbf4178ce, v43
	v_add_f32_e32 v13, v0, v13
	v_fma_f32 v16, 0x3f575c64, v22, -v16
	;; [unrolled: 6-line block ×3, first 2 shown]
	v_add_f32_e32 v13, v25, v15
	v_fmac_f32_e32 v53, 0xbf4178ce, v32
	v_add_f32_e32 v15, v18, v17
	v_fmac_f32_e32 v20, 0xbf7d64f0, v50
	v_add_f32_e32 v17, v19, v16
	v_fma_f32 v18, 0x3ed4b147, v56, -v57
	v_add_f32_e32 v19, v1, v53
	v_fmac_f32_e32 v55, 0x3f7d64f0, v2
	v_add_f32_e32 v16, v20, v15
	v_fma_f32 v15, 0xbf27a4f4, v23, -v63
	v_add_f32_e32 v17, v18, v17
	v_fma_f32 v18, 0xbe11bafb, v60, -v61
	v_add_f32_e32 v19, v55, v19
	v_fmac_f32_e32 v59, 0xbf0a6770, v43
	v_add_f32_e32 v20, v0, v15
	v_fma_f32 v21, 0xbe11bafb, v22, -v65
	v_fmac_f32_e32 v66, 0xbf7d64f0, v32
	v_add_f32_e32 v15, v18, v17
	v_add_f32_e32 v17, v59, v19
	v_fmac_f32_e32 v62, 0xbe903f40, v35
	v_add_f32_e32 v18, v21, v20
	v_fma_f32 v19, 0x3f575c64, v51, -v67
	v_add_f32_e32 v20, v1, v66
	v_fmac_f32_e32 v68, 0x3e903f40, v2
	v_add_f32_e32 v17, v62, v17
	v_fmac_f32_e32 v64, 0x3f68dda4, v50
	v_add_f32_e32 v19, v19, v18
	v_fma_f32 v21, 0xbf75a155, v56, -v69
	v_add_f32_e32 v20, v68, v20
	v_fmac_f32_e32 v70, 0x3f68dda4, v43
	v_fma_f32 v25, 0xbe11bafb, v23, -v92
	v_add_f32_e32 v18, v64, v17
	v_add_f32_e32 v17, v21, v19
	v_fma_f32 v21, 0xbf75a155, v22, -v97
	v_add_f32_e32 v19, v70, v20
	v_add_f32_e32 v20, v0, v25
	v_fma_f32 v26, 0x3ed4b147, v60, -v71
	v_fmac_f32_e32 v91, 0xbf0a6770, v35
	v_fmac_f32_e32 v94, 0xbf4178ce, v50
	v_fma_f32 v28, 0x3f575c64, v56, -v101
	v_add_f32_e32 v20, v21, v20
	v_fma_f32 v21, 0x3ed4b147, v51, -v99
	v_add_f32_e32 v17, v26, v17
	v_fma_f32 v26, 0x3ed4b147, v23, -v106
	v_fma_f32 v23, 0x3f575c64, v23, -v42
	v_add_f32_e32 v19, v91, v19
	v_add_f32_e32 v21, v21, v20
	v_fmac_f32_e32 v93, 0xbf68dda4, v32
	v_fmac_f32_e32 v27, 0xbf0a6770, v32
	;; [unrolled: 1-line block ×3, first 2 shown]
	v_add_f32_e32 v26, v0, v26
	v_fmac_f32_e32 v33, 0xbf68dda4, v2
	v_add_f32_e32 v0, v0, v23
	v_fma_f32 v2, 0x3ed4b147, v22, -v48
	v_add_f32_e32 v20, v94, v19
	v_add_f32_e32 v19, v28, v21
	v_fma_f32 v28, 0xbf27a4f4, v22, -v108
	v_add_f32_e32 v25, v1, v93
	v_add_f32_e32 v1, v1, v27
	v_add_f32_e32 v0, v2, v0
	v_fma_f32 v2, 0xbe11bafb, v51, -v38
	v_add_f32_e32 v22, v28, v26
	v_fma_f32 v23, 0xbf75a155, v51, -v110
	v_add_f32_e32 v1, v33, v1
	v_fmac_f32_e32 v41, 0xbf7d64f0, v43
	v_add_f32_e32 v25, v100, v25
	v_fmac_f32_e32 v103, 0x3e903f40, v43
	v_add_f32_e32 v0, v2, v0
	v_fma_f32 v2, 0xbf27a4f4, v56, -v47
	v_add_f32_e32 v22, v23, v22
	v_fma_f32 v23, 0xbe11bafb, v56, -v111
	v_add_f32_e32 v1, v41, v1
	v_fmac_f32_e32 v114, 0xbf4178ce, v35
	v_add_f32_e32 v25, v103, v25
	v_fmac_f32_e32 v105, 0x3f7d64f0, v35
	v_fma_f32 v21, 0xbf27a4f4, v60, -v104
	v_add_f32_e32 v2, v2, v0
	v_fma_f32 v27, 0xbf75a155, v60, -v29
	v_add_f32_e32 v22, v23, v22
	;; [unrolled: 2-line block ×3, first 2 shown]
	v_fmac_f32_e32 v24, 0xbe903f40, v50
	v_add_f32_e32 v25, v105, v25
	v_fmac_f32_e32 v107, 0x3f0a6770, v50
	v_add_f32_e32 v19, v21, v19
	v_add_f32_e32 v21, v27, v2
	v_add_nc_u32_e32 v2, 0x400, v95
	v_add_f32_e32 v0, v23, v22
	v_add_nc_u32_e32 v23, 0x800, v95
	;; [unrolled: 2-line block ×4, first 2 shown]
	ds_write2_b64 v95, v[13:14], v[11:12] offset1:99
	ds_write2_b64 v2, v[9:10], v[7:8] offset0:70 offset1:169
	ds_write2_b64 v23, v[5:6], v[3:4] offset0:140 offset1:239
	;; [unrolled: 1-line block ×4, first 2 shown]
	ds_write_b64 v95, v[21:22] offset:7920
.LBB0_17:
	s_or_b32 exec_lo, exec_lo, s0
	s_waitcnt lgkmcnt(1)
	v_add_nc_u32_e32 v4, 0x400, v95
	s_waitcnt lgkmcnt(0)
	s_barrier
	buffer_gl0_inv
	ds_read2_b64 v[0:3], v95 offset1:121
	ds_read2_b64 v[4:7], v4 offset0:114 offset1:235
	v_add_nc_u32_e32 v8, 0x1400, v95
	v_add_nc_u32_e32 v12, 0xc00, v95
	ds_read2_b64 v[8:11], v8 offset0:86 offset1:207
	ds_read2_b64 v[12:15], v12 offset0:100 offset1:221
	v_mad_u64_u32 v[16:17], null, s6, v72, 0
	v_mad_u64_u32 v[18:19], null, s4, v96, 0
	s_mov_b32 s0, 0xa3611655
	s_mov_b32 s1, 0x3f4e1709
	s_mul_i32 s3, s5, 0xb58
	s_mul_hi_u32 s6, s4, 0xb58
	s_mul_i32 s2, s4, 0xb58
	s_add_i32 s6, s6, s3
	s_mul_i32 s3, s5, 0xffffed18
	s_sub_i32 s3, s3, s4
	s_waitcnt lgkmcnt(3)
	v_mul_f32_e32 v20, v88, v1
	v_mul_f32_e32 v21, v88, v0
	s_waitcnt lgkmcnt(2)
	v_mul_f32_e32 v22, v90, v7
	v_mul_f32_e32 v23, v90, v6
	;; [unrolled: 1-line block ×3, first 2 shown]
	v_fmac_f32_e32 v20, v87, v0
	v_fma_f32 v21, v87, v1, -v21
	v_fmac_f32_e32 v22, v89, v6
	v_fma_f32 v24, v89, v7, -v23
	v_mad_u64_u32 v[0:1], null, s7, v72, v[17:18]
	v_cvt_f64_f32_e32 v[6:7], v20
	v_cvt_f64_f32_e32 v[20:21], v21
	;; [unrolled: 1-line block ×4, first 2 shown]
	s_waitcnt lgkmcnt(1)
	v_mul_f32_e32 v30, v80, v9
	v_mul_f32_e32 v1, v86, v3
	v_mov_b32_e32 v17, v0
	v_mul_f32_e32 v0, v80, v8
	s_waitcnt lgkmcnt(0)
	v_mul_f32_e32 v31, v78, v13
	v_fmac_f32_e32 v30, v79, v8
	v_fmac_f32_e32 v1, v85, v2
	v_lshlrev_b64 v[16:17], 3, v[16:17]
	v_fma_f32 v8, v79, v9, -v0
	v_mul_f32_e32 v32, v78, v12
	v_mul_f32_e32 v33, v76, v11
	;; [unrolled: 1-line block ×3, first 2 shown]
	v_fmac_f32_e32 v31, v77, v12
	v_cvt_f64_f32_e32 v[8:9], v8
	v_add_co_u32 v16, vcc_lo, s12, v16
	v_fma_f32 v12, v77, v13, -v32
	v_mul_f32_e32 v35, v74, v5
	v_mul_f64 v[6:7], v[6:7], s[0:1]
	v_mad_u64_u32 v[26:27], null, s5, v96, v[19:20]
	v_mul_f64 v[20:21], v[20:21], s[0:1]
	v_mul_f64 v[22:23], v[22:23], s[0:1]
	ds_read_b64 v[27:28], v95 offset:7744
	v_mul_f64 v[24:25], v[24:25], s[0:1]
	v_fmac_f32_e32 v33, v75, v10
	v_add_co_ci_u32_e32 v17, vcc_lo, s13, v17, vcc_lo
	v_mov_b32_e32 v19, v26
	v_fma_f32 v26, v85, v3, -v29
	v_cvt_f64_f32_e32 v[2:3], v30
	v_fmac_f32_e32 v35, v73, v4
	v_mul_f32_e32 v4, v74, v4
	v_lshlrev_b64 v[18:19], 3, v[18:19]
	v_cvt_f64_f32_e32 v[29:30], v26
	v_mul_f32_e32 v26, v82, v15
	v_cvt_f64_f32_e32 v[0:1], v1
	v_fma_f32 v4, v73, v5, -v4
	v_mul_f64 v[8:9], v[8:9], s[0:1]
	v_add_co_u32 v16, vcc_lo, v16, v18
	v_cvt_f32_f64_e32 v6, v[6:7]
	v_fmac_f32_e32 v26, v81, v14
	v_cvt_f32_f64_e32 v7, v[20:21]
	v_cvt_f32_f64_e32 v18, v[22:23]
	v_cvt_f64_f32_e32 v[20:21], v31
	v_fma_f32 v22, v75, v11, -v34
	v_cvt_f64_f32_e32 v[10:11], v12
	v_mul_f32_e32 v31, v82, v14
	v_cvt_f64_f32_e32 v[12:13], v33
	s_waitcnt lgkmcnt(0)
	v_mul_f32_e32 v33, v84, v28
	v_mul_f32_e32 v32, v84, v27
	v_cvt_f64_f32_e32 v[22:23], v22
	v_fma_f32 v31, v81, v15, -v31
	v_add_co_ci_u32_e32 v17, vcc_lo, v17, v19, vcc_lo
	v_fmac_f32_e32 v33, v83, v27
	v_fma_f32 v28, v83, v28, -v32
	v_mul_f64 v[2:3], v[2:3], s[0:1]
	v_cvt_f32_f64_e32 v19, v[24:25]
	v_cvt_f64_f32_e32 v[24:25], v35
	v_cvt_f64_f32_e32 v[4:5], v4
	;; [unrolled: 1-line block ×6, first 2 shown]
	v_add_co_u32 v14, vcc_lo, v16, s2
	v_mul_f64 v[20:21], v[20:21], s[0:1]
	v_mul_f64 v[10:11], v[10:11], s[0:1]
	v_add_co_ci_u32_e32 v15, vcc_lo, s6, v17, vcc_lo
	v_add_co_u32 v37, vcc_lo, v14, s2
	v_mul_f64 v[0:1], v[0:1], s[0:1]
	v_mul_f64 v[28:29], v[29:30], s[0:1]
	v_add_co_ci_u32_e32 v38, vcc_lo, s6, v15, vcc_lo
	v_mul_f64 v[12:13], v[12:13], s[0:1]
	v_mul_f64 v[22:23], v[22:23], s[0:1]
	v_cvt_f32_f64_e32 v2, v[2:3]
	v_cvt_f32_f64_e32 v3, v[8:9]
	v_mad_u64_u32 v[8:9], null, 0xffffed18, s4, v[37:38]
	v_mul_f64 v[24:25], v[24:25], s[0:1]
	v_mul_f64 v[4:5], v[4:5], s[0:1]
	v_mul_f64 v[26:27], v[26:27], s[0:1]
	v_mul_f64 v[30:31], v[31:32], s[0:1]
	v_mul_f64 v[32:33], v[33:34], s[0:1]
	v_mul_f64 v[34:35], v[35:36], s[0:1]
	v_add_nc_u32_e32 v9, s3, v9
	v_cvt_f32_f64_e32 v20, v[20:21]
	v_cvt_f32_f64_e32 v21, v[10:11]
	v_add_co_u32 v10, vcc_lo, v8, s2
	v_add_co_ci_u32_e32 v11, vcc_lo, s6, v9, vcc_lo
	v_cvt_f32_f64_e32 v0, v[0:1]
	v_cvt_f32_f64_e32 v1, v[28:29]
	v_add_co_u32 v28, vcc_lo, v10, s2
	v_add_co_ci_u32_e32 v29, vcc_lo, s6, v11, vcc_lo
	v_cvt_f32_f64_e32 v12, v[12:13]
	v_cvt_f32_f64_e32 v13, v[22:23]
	global_store_dwordx2 v[16:17], v[6:7], off
	global_store_dwordx2 v[14:15], v[18:19], off
	v_cvt_f32_f64_e32 v22, v[24:25]
	v_cvt_f32_f64_e32 v23, v[4:5]
	v_mad_u64_u32 v[4:5], null, 0xffffed18, s4, v[28:29]
	v_cvt_f32_f64_e32 v24, v[26:27]
	v_cvt_f32_f64_e32 v25, v[30:31]
	;; [unrolled: 1-line block ×4, first 2 shown]
	global_store_dwordx2 v[37:38], v[2:3], off
	v_add_nc_u32_e32 v5, s3, v5
	v_add_co_u32 v2, vcc_lo, v4, s2
	global_store_dwordx2 v[8:9], v[0:1], off
	v_add_co_ci_u32_e32 v3, vcc_lo, s6, v5, vcc_lo
	v_add_co_u32 v0, vcc_lo, v2, s2
	v_add_co_ci_u32_e32 v1, vcc_lo, s6, v3, vcc_lo
	global_store_dwordx2 v[10:11], v[20:21], off
	global_store_dwordx2 v[28:29], v[12:13], off
	;; [unrolled: 1-line block ×5, first 2 shown]
.LBB0_18:
	s_endpgm
	.section	.rodata,"a",@progbits
	.p2align	6, 0x0
	.amdhsa_kernel bluestein_single_back_len1089_dim1_sp_op_CI_CI
		.amdhsa_group_segment_fixed_size 8712
		.amdhsa_private_segment_fixed_size 0
		.amdhsa_kernarg_size 104
		.amdhsa_user_sgpr_count 6
		.amdhsa_user_sgpr_private_segment_buffer 1
		.amdhsa_user_sgpr_dispatch_ptr 0
		.amdhsa_user_sgpr_queue_ptr 0
		.amdhsa_user_sgpr_kernarg_segment_ptr 1
		.amdhsa_user_sgpr_dispatch_id 0
		.amdhsa_user_sgpr_flat_scratch_init 0
		.amdhsa_user_sgpr_private_segment_size 0
		.amdhsa_wavefront_size32 1
		.amdhsa_uses_dynamic_stack 0
		.amdhsa_system_sgpr_private_segment_wavefront_offset 0
		.amdhsa_system_sgpr_workgroup_id_x 1
		.amdhsa_system_sgpr_workgroup_id_y 0
		.amdhsa_system_sgpr_workgroup_id_z 0
		.amdhsa_system_sgpr_workgroup_info 0
		.amdhsa_system_vgpr_workitem_id 0
		.amdhsa_next_free_vgpr 196
		.amdhsa_next_free_sgpr 20
		.amdhsa_reserve_vcc 1
		.amdhsa_reserve_flat_scratch 0
		.amdhsa_float_round_mode_32 0
		.amdhsa_float_round_mode_16_64 0
		.amdhsa_float_denorm_mode_32 3
		.amdhsa_float_denorm_mode_16_64 3
		.amdhsa_dx10_clamp 1
		.amdhsa_ieee_mode 1
		.amdhsa_fp16_overflow 0
		.amdhsa_workgroup_processor_mode 1
		.amdhsa_memory_ordered 1
		.amdhsa_forward_progress 0
		.amdhsa_shared_vgpr_count 0
		.amdhsa_exception_fp_ieee_invalid_op 0
		.amdhsa_exception_fp_denorm_src 0
		.amdhsa_exception_fp_ieee_div_zero 0
		.amdhsa_exception_fp_ieee_overflow 0
		.amdhsa_exception_fp_ieee_underflow 0
		.amdhsa_exception_fp_ieee_inexact 0
		.amdhsa_exception_int_div_zero 0
	.end_amdhsa_kernel
	.text
.Lfunc_end0:
	.size	bluestein_single_back_len1089_dim1_sp_op_CI_CI, .Lfunc_end0-bluestein_single_back_len1089_dim1_sp_op_CI_CI
                                        ; -- End function
	.section	.AMDGPU.csdata,"",@progbits
; Kernel info:
; codeLenInByte = 13984
; NumSgprs: 22
; NumVgprs: 196
; ScratchSize: 0
; MemoryBound: 0
; FloatMode: 240
; IeeeMode: 1
; LDSByteSize: 8712 bytes/workgroup (compile time only)
; SGPRBlocks: 2
; VGPRBlocks: 24
; NumSGPRsForWavesPerEU: 22
; NumVGPRsForWavesPerEU: 196
; Occupancy: 4
; WaveLimiterHint : 1
; COMPUTE_PGM_RSRC2:SCRATCH_EN: 0
; COMPUTE_PGM_RSRC2:USER_SGPR: 6
; COMPUTE_PGM_RSRC2:TRAP_HANDLER: 0
; COMPUTE_PGM_RSRC2:TGID_X_EN: 1
; COMPUTE_PGM_RSRC2:TGID_Y_EN: 0
; COMPUTE_PGM_RSRC2:TGID_Z_EN: 0
; COMPUTE_PGM_RSRC2:TIDIG_COMP_CNT: 0
	.text
	.p2alignl 6, 3214868480
	.fill 48, 4, 3214868480
	.type	__hip_cuid_a129dfb4abe89345,@object ; @__hip_cuid_a129dfb4abe89345
	.section	.bss,"aw",@nobits
	.globl	__hip_cuid_a129dfb4abe89345
__hip_cuid_a129dfb4abe89345:
	.byte	0                               ; 0x0
	.size	__hip_cuid_a129dfb4abe89345, 1

	.ident	"AMD clang version 19.0.0git (https://github.com/RadeonOpenCompute/llvm-project roc-6.4.0 25133 c7fe45cf4b819c5991fe208aaa96edf142730f1d)"
	.section	".note.GNU-stack","",@progbits
	.addrsig
	.addrsig_sym __hip_cuid_a129dfb4abe89345
	.amdgpu_metadata
---
amdhsa.kernels:
  - .args:
      - .actual_access:  read_only
        .address_space:  global
        .offset:         0
        .size:           8
        .value_kind:     global_buffer
      - .actual_access:  read_only
        .address_space:  global
        .offset:         8
        .size:           8
        .value_kind:     global_buffer
      - .actual_access:  read_only
        .address_space:  global
        .offset:         16
        .size:           8
        .value_kind:     global_buffer
      - .actual_access:  read_only
        .address_space:  global
        .offset:         24
        .size:           8
        .value_kind:     global_buffer
      - .actual_access:  read_only
        .address_space:  global
        .offset:         32
        .size:           8
        .value_kind:     global_buffer
      - .offset:         40
        .size:           8
        .value_kind:     by_value
      - .address_space:  global
        .offset:         48
        .size:           8
        .value_kind:     global_buffer
      - .address_space:  global
        .offset:         56
        .size:           8
        .value_kind:     global_buffer
      - .address_space:  global
        .offset:         64
        .size:           8
        .value_kind:     global_buffer
      - .address_space:  global
        .offset:         72
        .size:           8
        .value_kind:     global_buffer
      - .offset:         80
        .size:           4
        .value_kind:     by_value
      - .address_space:  global
        .offset:         88
        .size:           8
        .value_kind:     global_buffer
      - .address_space:  global
        .offset:         96
        .size:           8
        .value_kind:     global_buffer
    .group_segment_fixed_size: 8712
    .kernarg_segment_align: 8
    .kernarg_segment_size: 104
    .language:       OpenCL C
    .language_version:
      - 2
      - 0
    .max_flat_workgroup_size: 121
    .name:           bluestein_single_back_len1089_dim1_sp_op_CI_CI
    .private_segment_fixed_size: 0
    .sgpr_count:     22
    .sgpr_spill_count: 0
    .symbol:         bluestein_single_back_len1089_dim1_sp_op_CI_CI.kd
    .uniform_work_group_size: 1
    .uses_dynamic_stack: false
    .vgpr_count:     196
    .vgpr_spill_count: 0
    .wavefront_size: 32
    .workgroup_processor_mode: 1
amdhsa.target:   amdgcn-amd-amdhsa--gfx1030
amdhsa.version:
  - 1
  - 2
...

	.end_amdgpu_metadata
